;; amdgpu-corpus repo=ROCm/rocBLAS kind=compiled arch=gfx90a opt=O3
	.text
	.amdgcn_target "amdgcn-amd-amdhsa--gfx90a"
	.amdhsa_code_object_version 6
	.section	.text._ZL31rocblas_geam_zero_matrix_deviceILi16ELi16EPfEviiT1_llli,"axG",@progbits,_ZL31rocblas_geam_zero_matrix_deviceILi16ELi16EPfEviiT1_llli,comdat
	.globl	_ZL31rocblas_geam_zero_matrix_deviceILi16ELi16EPfEviiT1_llli ; -- Begin function _ZL31rocblas_geam_zero_matrix_deviceILi16ELi16EPfEviiT1_llli
	.p2align	8
	.type	_ZL31rocblas_geam_zero_matrix_deviceILi16ELi16EPfEviiT1_llli,@function
_ZL31rocblas_geam_zero_matrix_deviceILi16ELi16EPfEviiT1_llli: ; @_ZL31rocblas_geam_zero_matrix_deviceILi16ELi16EPfEviiT1_llli
; %bb.0:
	s_load_dwordx2 s[0:1], s[4:5], 0x0
	v_and_b32_e32 v3, 0x3ff, v0
	v_bfe_u32 v0, v0, 10, 10
	s_waitcnt lgkmcnt(0)
	s_add_i32 s2, s0, -1
	s_ashr_i32 s3, s2, 31
	s_lshr_b32 s3, s3, 28
	s_add_i32 s2, s2, s3
	s_ashr_i32 s2, s2, 4
	s_add_i32 s3, s2, 1
	v_cvt_f32_u32_e32 v1, s3
	s_not_b32 s2, s2
	v_rcp_iflag_f32_e32 v1, v1
	v_mul_f32_e32 v1, 0x4f7ffffe, v1
	v_cvt_u32_f32_e32 v1, v1
	v_readfirstlane_b32 s8, v1
	s_mul_i32 s2, s2, s8
	s_mul_hi_u32 s2, s8, s2
	s_add_i32 s8, s8, s2
	s_mul_hi_u32 s2, s6, s8
	s_mul_i32 s8, s2, s3
	s_sub_i32 s8, s6, s8
	s_add_i32 s9, s2, 1
	s_sub_i32 s10, s8, s3
	s_cmp_ge_u32 s8, s3
	s_cselect_b32 s2, s9, s2
	s_cselect_b32 s8, s10, s8
	s_add_i32 s9, s2, 1
	s_cmp_ge_u32 s8, s3
	s_cselect_b32 s2, s9, s2
	s_mul_i32 s3, s2, s3
	v_lshl_add_u32 v2, s2, 4, v0
	s_sub_i32 s2, s6, s3
	v_lshl_add_u32 v0, s2, 4, v3
	v_cmp_gt_i32_e32 vcc, s0, v0
	v_cmp_gt_i32_e64 s[0:1], s1, v2
	s_and_b64 s[0:1], vcc, s[0:1]
	s_and_saveexec_b64 s[2:3], s[0:1]
	s_cbranch_execz .LBB0_2
; %bb.1:
	s_load_dwordx8 s[8:15], s[4:5], 0x8
	v_ashrrev_i32_e32 v3, 31, v2
	v_ashrrev_i32_e32 v1, 31, v0
	v_lshlrev_b64 v[0:1], 2, v[0:1]
	s_waitcnt lgkmcnt(0)
	s_mul_i32 s1, s7, s15
	s_mul_hi_u32 s2, s7, s14
	s_mul_i32 s0, s7, s14
	s_add_i32 s1, s2, s1
	s_lshl_b64 s[0:1], s[0:1], 2
	s_add_u32 s2, s8, s0
	s_addc_u32 s3, s9, s1
	s_lshl_b64 s[0:1], s[10:11], 2
	s_add_u32 s2, s2, s0
	s_addc_u32 s3, s3, s1
	v_mul_lo_u32 v4, v2, s13
	v_mul_lo_u32 v5, v3, s12
	v_mad_u64_u32 v[2:3], s[0:1], v2, s12, 0
	v_add3_u32 v3, v3, v4, v5
	v_lshlrev_b64 v[2:3], 2, v[2:3]
	v_mov_b32_e32 v4, s3
	v_add_co_u32_e32 v2, vcc, s2, v2
	v_addc_co_u32_e32 v3, vcc, v4, v3, vcc
	v_add_co_u32_e32 v0, vcc, v2, v0
	v_addc_co_u32_e32 v1, vcc, v3, v1, vcc
	v_mov_b32_e32 v2, 0
	global_store_dword v[0:1], v2, off
.LBB0_2:
	s_endpgm
	.section	.rodata,"a",@progbits
	.p2align	6, 0x0
	.amdhsa_kernel _ZL31rocblas_geam_zero_matrix_deviceILi16ELi16EPfEviiT1_llli
		.amdhsa_group_segment_fixed_size 0
		.amdhsa_private_segment_fixed_size 0
		.amdhsa_kernarg_size 44
		.amdhsa_user_sgpr_count 6
		.amdhsa_user_sgpr_private_segment_buffer 1
		.amdhsa_user_sgpr_dispatch_ptr 0
		.amdhsa_user_sgpr_queue_ptr 0
		.amdhsa_user_sgpr_kernarg_segment_ptr 1
		.amdhsa_user_sgpr_dispatch_id 0
		.amdhsa_user_sgpr_flat_scratch_init 0
		.amdhsa_user_sgpr_kernarg_preload_length 0
		.amdhsa_user_sgpr_kernarg_preload_offset 0
		.amdhsa_user_sgpr_private_segment_size 0
		.amdhsa_uses_dynamic_stack 0
		.amdhsa_system_sgpr_private_segment_wavefront_offset 0
		.amdhsa_system_sgpr_workgroup_id_x 1
		.amdhsa_system_sgpr_workgroup_id_y 0
		.amdhsa_system_sgpr_workgroup_id_z 1
		.amdhsa_system_sgpr_workgroup_info 0
		.amdhsa_system_vgpr_workitem_id 1
		.amdhsa_next_free_vgpr 6
		.amdhsa_next_free_sgpr 16
		.amdhsa_accum_offset 8
		.amdhsa_reserve_vcc 1
		.amdhsa_reserve_flat_scratch 0
		.amdhsa_float_round_mode_32 0
		.amdhsa_float_round_mode_16_64 0
		.amdhsa_float_denorm_mode_32 3
		.amdhsa_float_denorm_mode_16_64 3
		.amdhsa_dx10_clamp 1
		.amdhsa_ieee_mode 1
		.amdhsa_fp16_overflow 0
		.amdhsa_tg_split 0
		.amdhsa_exception_fp_ieee_invalid_op 0
		.amdhsa_exception_fp_denorm_src 0
		.amdhsa_exception_fp_ieee_div_zero 0
		.amdhsa_exception_fp_ieee_overflow 0
		.amdhsa_exception_fp_ieee_underflow 0
		.amdhsa_exception_fp_ieee_inexact 0
		.amdhsa_exception_int_div_zero 0
	.end_amdhsa_kernel
	.section	.text._ZL31rocblas_geam_zero_matrix_deviceILi16ELi16EPfEviiT1_llli,"axG",@progbits,_ZL31rocblas_geam_zero_matrix_deviceILi16ELi16EPfEviiT1_llli,comdat
.Lfunc_end0:
	.size	_ZL31rocblas_geam_zero_matrix_deviceILi16ELi16EPfEviiT1_llli, .Lfunc_end0-_ZL31rocblas_geam_zero_matrix_deviceILi16ELi16EPfEviiT1_llli
                                        ; -- End function
	.section	.AMDGPU.csdata,"",@progbits
; Kernel info:
; codeLenInByte = 328
; NumSgprs: 20
; NumVgprs: 6
; NumAgprs: 0
; TotalNumVgprs: 6
; ScratchSize: 0
; MemoryBound: 0
; FloatMode: 240
; IeeeMode: 1
; LDSByteSize: 0 bytes/workgroup (compile time only)
; SGPRBlocks: 2
; VGPRBlocks: 0
; NumSGPRsForWavesPerEU: 20
; NumVGPRsForWavesPerEU: 6
; AccumOffset: 8
; Occupancy: 8
; WaveLimiterHint : 0
; COMPUTE_PGM_RSRC2:SCRATCH_EN: 0
; COMPUTE_PGM_RSRC2:USER_SGPR: 6
; COMPUTE_PGM_RSRC2:TRAP_HANDLER: 0
; COMPUTE_PGM_RSRC2:TGID_X_EN: 1
; COMPUTE_PGM_RSRC2:TGID_Y_EN: 0
; COMPUTE_PGM_RSRC2:TGID_Z_EN: 1
; COMPUTE_PGM_RSRC2:TIDIG_COMP_CNT: 1
; COMPUTE_PGM_RSRC3_GFX90A:ACCUM_OFFSET: 1
; COMPUTE_PGM_RSRC3_GFX90A:TG_SPLIT: 0
	.section	.text._ZL27rocblas_geam_inplace_deviceILi16ELi16EfPKfPfEv18rocblas_operation_iiT1_S4_T2_lllT3_llli,"axG",@progbits,_ZL27rocblas_geam_inplace_deviceILi16ELi16EfPKfPfEv18rocblas_operation_iiT1_S4_T2_lllT3_llli,comdat
	.globl	_ZL27rocblas_geam_inplace_deviceILi16ELi16EfPKfPfEv18rocblas_operation_iiT1_S4_T2_lllT3_llli ; -- Begin function _ZL27rocblas_geam_inplace_deviceILi16ELi16EfPKfPfEv18rocblas_operation_iiT1_S4_T2_lllT3_llli
	.p2align	8
	.type	_ZL27rocblas_geam_inplace_deviceILi16ELi16EfPKfPfEv18rocblas_operation_iiT1_S4_T2_lllT3_llli,@function
_ZL27rocblas_geam_inplace_deviceILi16ELi16EfPKfPfEv18rocblas_operation_iiT1_S4_T2_lllT3_llli: ; @_ZL27rocblas_geam_inplace_deviceILi16ELi16EfPKfPfEv18rocblas_operation_iiT1_S4_T2_lllT3_llli
; %bb.0:
	s_load_dwordx4 s[24:27], s[4:5], 0x0
	v_and_b32_e32 v3, 0x3ff, v0
	v_bfe_u32 v0, v0, 10, 10
	s_waitcnt lgkmcnt(0)
	s_add_i32 s0, s25, -1
	s_ashr_i32 s1, s0, 31
	s_lshr_b32 s1, s1, 28
	s_add_i32 s0, s0, s1
	s_ashr_i32 s0, s0, 4
	s_add_i32 s1, s0, 1
	v_cvt_f32_u32_e32 v1, s1
	s_not_b32 s0, s0
	v_rcp_iflag_f32_e32 v1, v1
	v_mul_f32_e32 v1, 0x4f7ffffe, v1
	v_cvt_u32_f32_e32 v1, v1
	v_readfirstlane_b32 s2, v1
	s_mul_i32 s0, s0, s2
	s_mul_hi_u32 s0, s2, s0
	s_add_i32 s2, s2, s0
	s_mul_hi_u32 s0, s6, s2
	s_mul_i32 s2, s0, s1
	s_sub_i32 s2, s6, s2
	s_add_i32 s3, s0, 1
	s_sub_i32 s8, s2, s1
	s_cmp_ge_u32 s2, s1
	s_cselect_b32 s0, s3, s0
	s_cselect_b32 s2, s8, s2
	s_add_i32 s3, s0, 1
	s_cmp_ge_u32 s2, s1
	s_cselect_b32 s0, s3, s0
	s_mul_i32 s1, s0, s1
	v_lshl_add_u32 v2, s0, 4, v0
	s_sub_i32 s0, s6, s1
	v_lshl_add_u32 v4, s0, 4, v3
	v_cmp_gt_i32_e32 vcc, s25, v4
	v_cmp_gt_i32_e64 s[0:1], s26, v2
	s_and_b64 s[0:1], vcc, s[0:1]
	s_and_saveexec_b64 s[2:3], s[0:1]
	s_cbranch_execz .LBB1_6
; %bb.1:
	s_load_dwordx16 s[8:23], s[4:5], 0x18
	s_load_dword s0, s[4:5], 0x10
	v_ashrrev_i32_e32 v5, 31, v4
	v_ashrrev_i32_e32 v3, 31, v2
	s_waitcnt lgkmcnt(0)
	s_mul_i32 s1, s7, s23
	s_mul_hi_u32 s3, s7, s22
	s_mul_i32 s2, s7, s22
	s_add_i32 s3, s3, s1
	s_lshl_b64 s[2:3], s[2:3], 2
	s_add_u32 s1, s16, s2
	s_addc_u32 s4, s17, s3
	s_lshl_b64 s[2:3], s[18:19], 2
	s_add_u32 s2, s1, s2
	s_addc_u32 s3, s4, s3
	v_mul_lo_u32 v6, v2, s21
	v_mul_lo_u32 v7, v3, s20
	v_mad_u64_u32 v[0:1], s[4:5], v2, s20, v[4:5]
	v_add3_u32 v1, v7, v1, v6
	v_cmp_neq_f32_e64 s[4:5], s0, 0
	s_and_b64 vcc, exec, s[4:5]
	v_lshlrev_b64 v[0:1], 2, v[0:1]
	s_cbranch_vccz .LBB1_7
; %bb.2:
	s_mul_i32 s1, s7, s15
	s_mul_hi_u32 s4, s7, s14
	s_add_i32 s5, s4, s1
	s_mul_i32 s4, s7, s14
	s_lshl_b64 s[4:5], s[4:5], 2
	s_add_u32 s1, s8, s4
	s_addc_u32 s6, s9, s5
	s_lshl_b64 s[4:5], s[10:11], 2
	s_add_u32 s1, s1, s4
	s_addc_u32 s6, s6, s5
	s_cmpk_eq_i32 s24, 0x6f
	s_cselect_b64 vcc, -1, 0
	v_cndmask_b32_e32 v6, v4, v2, vcc
	v_cndmask_b32_e32 v7, v5, v3, vcc
	;; [unrolled: 1-line block ×4, first 2 shown]
	v_mul_lo_u32 v7, v7, s12
	v_mul_lo_u32 v8, v6, s13
	v_mad_u64_u32 v[4:5], s[4:5], v6, s12, 0
	v_add3_u32 v5, v5, v8, v7
	v_lshlrev_b64 v[4:5], 2, v[4:5]
	v_mov_b32_e32 v6, s6
	v_add_co_u32_e32 v4, vcc, s1, v4
	v_addc_co_u32_e32 v5, vcc, v6, v5, vcc
	v_lshlrev_b64 v[2:3], 2, v[2:3]
	v_add_co_u32_e32 v2, vcc, v4, v2
	v_addc_co_u32_e32 v3, vcc, v5, v3, vcc
	global_load_dword v4, v[2:3], off
	v_mov_b32_e32 v3, s3
	v_add_co_u32_e32 v2, vcc, s2, v0
	v_cmp_neq_f32_e64 s[4:5], s27, 0
	v_addc_co_u32_e32 v3, vcc, v3, v1, vcc
	s_and_b64 vcc, exec, s[4:5]
	s_waitcnt vmcnt(0)
	v_mul_f32_e32 v4, s0, v4
	s_cbranch_vccz .LBB1_11
; %bb.3:
	global_load_dword v5, v[2:3], off
	s_waitcnt vmcnt(0)
	v_fma_f32 v5, s27, v5, v4
	global_store_dword v[2:3], v5, off
	s_cbranch_execnz .LBB1_5
.LBB1_4:
	global_store_dword v[2:3], v4, off
.LBB1_5:
	s_cbranch_execz .LBB1_8
.LBB1_6:
	s_endpgm
.LBB1_7:
.LBB1_8:
	v_cmp_eq_f32_e64 s[0:1], s27, 0
	v_mov_b32_e32 v2, 0
	s_and_b64 vcc, exec, s[0:1]
	s_cbranch_vccnz .LBB1_10
; %bb.9:
	v_mov_b32_e32 v3, s3
	v_add_co_u32_e32 v2, vcc, s2, v0
	v_addc_co_u32_e32 v3, vcc, v3, v1, vcc
	global_load_dword v2, v[2:3], off
	s_waitcnt vmcnt(0)
	v_mul_f32_e32 v2, s27, v2
.LBB1_10:
	v_mov_b32_e32 v3, s3
	v_add_co_u32_e32 v0, vcc, s2, v0
	v_addc_co_u32_e32 v1, vcc, v3, v1, vcc
	global_store_dword v[0:1], v2, off
	s_endpgm
.LBB1_11:
	s_branch .LBB1_4
	.section	.rodata,"a",@progbits
	.p2align	6, 0x0
	.amdhsa_kernel _ZL27rocblas_geam_inplace_deviceILi16ELi16EfPKfPfEv18rocblas_operation_iiT1_S4_T2_lllT3_llli
		.amdhsa_group_segment_fixed_size 0
		.amdhsa_private_segment_fixed_size 0
		.amdhsa_kernarg_size 92
		.amdhsa_user_sgpr_count 6
		.amdhsa_user_sgpr_private_segment_buffer 1
		.amdhsa_user_sgpr_dispatch_ptr 0
		.amdhsa_user_sgpr_queue_ptr 0
		.amdhsa_user_sgpr_kernarg_segment_ptr 1
		.amdhsa_user_sgpr_dispatch_id 0
		.amdhsa_user_sgpr_flat_scratch_init 0
		.amdhsa_user_sgpr_kernarg_preload_length 0
		.amdhsa_user_sgpr_kernarg_preload_offset 0
		.amdhsa_user_sgpr_private_segment_size 0
		.amdhsa_uses_dynamic_stack 0
		.amdhsa_system_sgpr_private_segment_wavefront_offset 0
		.amdhsa_system_sgpr_workgroup_id_x 1
		.amdhsa_system_sgpr_workgroup_id_y 0
		.amdhsa_system_sgpr_workgroup_id_z 1
		.amdhsa_system_sgpr_workgroup_info 0
		.amdhsa_system_vgpr_workitem_id 1
		.amdhsa_next_free_vgpr 9
		.amdhsa_next_free_sgpr 28
		.amdhsa_accum_offset 12
		.amdhsa_reserve_vcc 1
		.amdhsa_reserve_flat_scratch 0
		.amdhsa_float_round_mode_32 0
		.amdhsa_float_round_mode_16_64 0
		.amdhsa_float_denorm_mode_32 3
		.amdhsa_float_denorm_mode_16_64 3
		.amdhsa_dx10_clamp 1
		.amdhsa_ieee_mode 1
		.amdhsa_fp16_overflow 0
		.amdhsa_tg_split 0
		.amdhsa_exception_fp_ieee_invalid_op 0
		.amdhsa_exception_fp_denorm_src 0
		.amdhsa_exception_fp_ieee_div_zero 0
		.amdhsa_exception_fp_ieee_overflow 0
		.amdhsa_exception_fp_ieee_underflow 0
		.amdhsa_exception_fp_ieee_inexact 0
		.amdhsa_exception_int_div_zero 0
	.end_amdhsa_kernel
	.section	.text._ZL27rocblas_geam_inplace_deviceILi16ELi16EfPKfPfEv18rocblas_operation_iiT1_S4_T2_lllT3_llli,"axG",@progbits,_ZL27rocblas_geam_inplace_deviceILi16ELi16EfPKfPfEv18rocblas_operation_iiT1_S4_T2_lllT3_llli,comdat
.Lfunc_end1:
	.size	_ZL27rocblas_geam_inplace_deviceILi16ELi16EfPKfPfEv18rocblas_operation_iiT1_S4_T2_lllT3_llli, .Lfunc_end1-_ZL27rocblas_geam_inplace_deviceILi16ELi16EfPKfPfEv18rocblas_operation_iiT1_S4_T2_lllT3_llli
                                        ; -- End function
	.section	.AMDGPU.csdata,"",@progbits
; Kernel info:
; codeLenInByte = 608
; NumSgprs: 32
; NumVgprs: 9
; NumAgprs: 0
; TotalNumVgprs: 9
; ScratchSize: 0
; MemoryBound: 0
; FloatMode: 240
; IeeeMode: 1
; LDSByteSize: 0 bytes/workgroup (compile time only)
; SGPRBlocks: 3
; VGPRBlocks: 1
; NumSGPRsForWavesPerEU: 32
; NumVGPRsForWavesPerEU: 9
; AccumOffset: 12
; Occupancy: 8
; WaveLimiterHint : 0
; COMPUTE_PGM_RSRC2:SCRATCH_EN: 0
; COMPUTE_PGM_RSRC2:USER_SGPR: 6
; COMPUTE_PGM_RSRC2:TRAP_HANDLER: 0
; COMPUTE_PGM_RSRC2:TGID_X_EN: 1
; COMPUTE_PGM_RSRC2:TGID_Y_EN: 0
; COMPUTE_PGM_RSRC2:TGID_Z_EN: 1
; COMPUTE_PGM_RSRC2:TIDIG_COMP_CNT: 1
; COMPUTE_PGM_RSRC3_GFX90A:ACCUM_OFFSET: 2
; COMPUTE_PGM_RSRC3_GFX90A:TG_SPLIT: 0
	.section	.text._ZL27rocblas_geam_inplace_deviceILi16ELi16EPKfS1_PfEv18rocblas_operation_iiT1_S4_T2_lllT3_llli,"axG",@progbits,_ZL27rocblas_geam_inplace_deviceILi16ELi16EPKfS1_PfEv18rocblas_operation_iiT1_S4_T2_lllT3_llli,comdat
	.globl	_ZL27rocblas_geam_inplace_deviceILi16ELi16EPKfS1_PfEv18rocblas_operation_iiT1_S4_T2_lllT3_llli ; -- Begin function _ZL27rocblas_geam_inplace_deviceILi16ELi16EPKfS1_PfEv18rocblas_operation_iiT1_S4_T2_lllT3_llli
	.p2align	8
	.type	_ZL27rocblas_geam_inplace_deviceILi16ELi16EPKfS1_PfEv18rocblas_operation_iiT1_S4_T2_lllT3_llli,@function
_ZL27rocblas_geam_inplace_deviceILi16ELi16EPKfS1_PfEv18rocblas_operation_iiT1_S4_T2_lllT3_llli: ; @_ZL27rocblas_geam_inplace_deviceILi16ELi16EPKfS1_PfEv18rocblas_operation_iiT1_S4_T2_lllT3_llli
; %bb.0:
	s_load_dwordx4 s[24:27], s[4:5], 0x0
	v_and_b32_e32 v3, 0x3ff, v0
	v_bfe_u32 v0, v0, 10, 10
	s_waitcnt lgkmcnt(0)
	s_add_i32 s0, s25, -1
	s_ashr_i32 s1, s0, 31
	s_lshr_b32 s1, s1, 28
	s_add_i32 s0, s0, s1
	s_ashr_i32 s0, s0, 4
	s_add_i32 s1, s0, 1
	v_cvt_f32_u32_e32 v1, s1
	s_not_b32 s0, s0
	v_rcp_iflag_f32_e32 v1, v1
	v_mul_f32_e32 v1, 0x4f7ffffe, v1
	v_cvt_u32_f32_e32 v1, v1
	v_readfirstlane_b32 s2, v1
	s_mul_i32 s0, s0, s2
	s_mul_hi_u32 s0, s2, s0
	s_add_i32 s2, s2, s0
	s_mul_hi_u32 s0, s6, s2
	s_mul_i32 s2, s0, s1
	s_sub_i32 s2, s6, s2
	s_add_i32 s3, s0, 1
	s_sub_i32 s8, s2, s1
	s_cmp_ge_u32 s2, s1
	s_cselect_b32 s0, s3, s0
	s_cselect_b32 s2, s8, s2
	s_add_i32 s3, s0, 1
	s_cmp_ge_u32 s2, s1
	s_cselect_b32 s0, s3, s0
	s_mul_i32 s1, s0, s1
	v_lshl_add_u32 v2, s0, 4, v0
	s_sub_i32 s0, s6, s1
	v_lshl_add_u32 v4, s0, 4, v3
	v_cmp_gt_i32_e32 vcc, s25, v4
	v_cmp_gt_i32_e64 s[0:1], s26, v2
	s_and_b64 s[0:1], vcc, s[0:1]
	s_and_saveexec_b64 s[2:3], s[0:1]
	s_cbranch_execz .LBB2_6
; %bb.1:
	s_load_dwordx16 s[8:23], s[4:5], 0x10
	s_load_dwordx4 s[28:31], s[4:5], 0x50
	v_ashrrev_i32_e32 v5, 31, v4
	v_ashrrev_i32_e32 v3, 31, v2
	s_waitcnt lgkmcnt(0)
	s_load_dword s2, s[8:9], 0x0
	s_load_dword s0, s[10:11], 0x0
	s_mul_i32 s1, s7, s31
	s_mul_hi_u32 s3, s7, s30
	s_add_i32 s5, s3, s1
	s_mul_i32 s4, s7, s30
	s_lshl_b64 s[4:5], s[4:5], 2
	s_add_u32 s1, s20, s4
	s_addc_u32 s6, s21, s5
	s_lshl_b64 s[4:5], s[22:23], 2
	v_mul_lo_u32 v6, v2, s29
	v_mul_lo_u32 v7, v3, s28
	v_mad_u64_u32 v[0:1], s[8:9], v2, s28, v[4:5]
	s_add_u32 s3, s1, s4
	v_add3_u32 v1, v7, v1, v6
	s_waitcnt lgkmcnt(0)
	v_cmp_neq_f32_e64 s[8:9], s0, 0
	s_addc_u32 s4, s6, s5
	s_and_b64 vcc, exec, s[8:9]
	v_lshlrev_b64 v[0:1], 2, v[0:1]
	s_cbranch_vccz .LBB2_7
; %bb.2:
	s_mul_i32 s1, s7, s19
	s_mul_hi_u32 s5, s7, s18
	s_add_i32 s9, s5, s1
	s_mul_i32 s8, s7, s18
	s_lshl_b64 s[6:7], s[8:9], 2
	s_add_u32 s1, s12, s6
	s_addc_u32 s5, s13, s7
	s_lshl_b64 s[6:7], s[14:15], 2
	s_add_u32 s1, s1, s6
	s_addc_u32 s5, s5, s7
	s_cmpk_eq_i32 s24, 0x6f
	s_cselect_b64 vcc, -1, 0
	v_cndmask_b32_e32 v6, v4, v2, vcc
	v_cndmask_b32_e32 v7, v5, v3, vcc
	;; [unrolled: 1-line block ×4, first 2 shown]
	v_mul_lo_u32 v7, v7, s16
	v_mul_lo_u32 v8, v6, s17
	v_mad_u64_u32 v[4:5], s[6:7], v6, s16, 0
	v_add3_u32 v5, v5, v8, v7
	v_lshlrev_b64 v[4:5], 2, v[4:5]
	v_mov_b32_e32 v6, s5
	v_add_co_u32_e32 v4, vcc, s1, v4
	v_addc_co_u32_e32 v5, vcc, v6, v5, vcc
	v_lshlrev_b64 v[2:3], 2, v[2:3]
	v_add_co_u32_e32 v2, vcc, v4, v2
	v_addc_co_u32_e32 v3, vcc, v5, v3, vcc
	global_load_dword v4, v[2:3], off
	v_mov_b32_e32 v3, s4
	v_add_co_u32_e32 v2, vcc, s3, v0
	v_cmp_neq_f32_e64 s[6:7], s2, 0
	v_addc_co_u32_e32 v3, vcc, v3, v1, vcc
	s_and_b64 vcc, exec, s[6:7]
	s_waitcnt vmcnt(0)
	v_mul_f32_e32 v4, s0, v4
	s_cbranch_vccz .LBB2_11
; %bb.3:
	global_load_dword v5, v[2:3], off
	s_waitcnt vmcnt(0)
	v_fma_f32 v5, s2, v5, v4
	global_store_dword v[2:3], v5, off
	s_cbranch_execnz .LBB2_5
.LBB2_4:
	global_store_dword v[2:3], v4, off
.LBB2_5:
	s_cbranch_execz .LBB2_8
.LBB2_6:
	s_endpgm
.LBB2_7:
.LBB2_8:
	v_cmp_eq_f32_e64 s[0:1], s2, 0
	v_mov_b32_e32 v2, 0
	s_and_b64 vcc, exec, s[0:1]
	s_cbranch_vccnz .LBB2_10
; %bb.9:
	v_mov_b32_e32 v3, s4
	v_add_co_u32_e32 v2, vcc, s3, v0
	v_addc_co_u32_e32 v3, vcc, v3, v1, vcc
	global_load_dword v2, v[2:3], off
	s_waitcnt vmcnt(0)
	v_mul_f32_e32 v2, s2, v2
.LBB2_10:
	v_mov_b32_e32 v3, s4
	v_add_co_u32_e32 v0, vcc, s3, v0
	v_addc_co_u32_e32 v1, vcc, v3, v1, vcc
	global_store_dword v[0:1], v2, off
	s_endpgm
.LBB2_11:
	s_branch .LBB2_4
	.section	.rodata,"a",@progbits
	.p2align	6, 0x0
	.amdhsa_kernel _ZL27rocblas_geam_inplace_deviceILi16ELi16EPKfS1_PfEv18rocblas_operation_iiT1_S4_T2_lllT3_llli
		.amdhsa_group_segment_fixed_size 0
		.amdhsa_private_segment_fixed_size 0
		.amdhsa_kernarg_size 100
		.amdhsa_user_sgpr_count 6
		.amdhsa_user_sgpr_private_segment_buffer 1
		.amdhsa_user_sgpr_dispatch_ptr 0
		.amdhsa_user_sgpr_queue_ptr 0
		.amdhsa_user_sgpr_kernarg_segment_ptr 1
		.amdhsa_user_sgpr_dispatch_id 0
		.amdhsa_user_sgpr_flat_scratch_init 0
		.amdhsa_user_sgpr_kernarg_preload_length 0
		.amdhsa_user_sgpr_kernarg_preload_offset 0
		.amdhsa_user_sgpr_private_segment_size 0
		.amdhsa_uses_dynamic_stack 0
		.amdhsa_system_sgpr_private_segment_wavefront_offset 0
		.amdhsa_system_sgpr_workgroup_id_x 1
		.amdhsa_system_sgpr_workgroup_id_y 0
		.amdhsa_system_sgpr_workgroup_id_z 1
		.amdhsa_system_sgpr_workgroup_info 0
		.amdhsa_system_vgpr_workitem_id 1
		.amdhsa_next_free_vgpr 9
		.amdhsa_next_free_sgpr 32
		.amdhsa_accum_offset 12
		.amdhsa_reserve_vcc 1
		.amdhsa_reserve_flat_scratch 0
		.amdhsa_float_round_mode_32 0
		.amdhsa_float_round_mode_16_64 0
		.amdhsa_float_denorm_mode_32 3
		.amdhsa_float_denorm_mode_16_64 3
		.amdhsa_dx10_clamp 1
		.amdhsa_ieee_mode 1
		.amdhsa_fp16_overflow 0
		.amdhsa_tg_split 0
		.amdhsa_exception_fp_ieee_invalid_op 0
		.amdhsa_exception_fp_denorm_src 0
		.amdhsa_exception_fp_ieee_div_zero 0
		.amdhsa_exception_fp_ieee_overflow 0
		.amdhsa_exception_fp_ieee_underflow 0
		.amdhsa_exception_fp_ieee_inexact 0
		.amdhsa_exception_int_div_zero 0
	.end_amdhsa_kernel
	.section	.text._ZL27rocblas_geam_inplace_deviceILi16ELi16EPKfS1_PfEv18rocblas_operation_iiT1_S4_T2_lllT3_llli,"axG",@progbits,_ZL27rocblas_geam_inplace_deviceILi16ELi16EPKfS1_PfEv18rocblas_operation_iiT1_S4_T2_lllT3_llli,comdat
.Lfunc_end2:
	.size	_ZL27rocblas_geam_inplace_deviceILi16ELi16EPKfS1_PfEv18rocblas_operation_iiT1_S4_T2_lllT3_llli, .Lfunc_end2-_ZL27rocblas_geam_inplace_deviceILi16ELi16EPKfS1_PfEv18rocblas_operation_iiT1_S4_T2_lllT3_llli
                                        ; -- End function
	.section	.AMDGPU.csdata,"",@progbits
; Kernel info:
; codeLenInByte = 628
; NumSgprs: 36
; NumVgprs: 9
; NumAgprs: 0
; TotalNumVgprs: 9
; ScratchSize: 0
; MemoryBound: 0
; FloatMode: 240
; IeeeMode: 1
; LDSByteSize: 0 bytes/workgroup (compile time only)
; SGPRBlocks: 4
; VGPRBlocks: 1
; NumSGPRsForWavesPerEU: 36
; NumVGPRsForWavesPerEU: 9
; AccumOffset: 12
; Occupancy: 8
; WaveLimiterHint : 0
; COMPUTE_PGM_RSRC2:SCRATCH_EN: 0
; COMPUTE_PGM_RSRC2:USER_SGPR: 6
; COMPUTE_PGM_RSRC2:TRAP_HANDLER: 0
; COMPUTE_PGM_RSRC2:TGID_X_EN: 1
; COMPUTE_PGM_RSRC2:TGID_Y_EN: 0
; COMPUTE_PGM_RSRC2:TGID_Z_EN: 1
; COMPUTE_PGM_RSRC2:TIDIG_COMP_CNT: 1
; COMPUTE_PGM_RSRC3_GFX90A:ACCUM_OFFSET: 2
; COMPUTE_PGM_RSRC3_GFX90A:TG_SPLIT: 0
	.section	.text._ZL30rocblas_geam_1D_2matrix_deviceILi256EfPKfPfEvmT0_T1_llT2_lli,"axG",@progbits,_ZL30rocblas_geam_1D_2matrix_deviceILi256EfPKfPfEvmT0_T1_llT2_lli,comdat
	.globl	_ZL30rocblas_geam_1D_2matrix_deviceILi256EfPKfPfEvmT0_T1_llT2_lli ; -- Begin function _ZL30rocblas_geam_1D_2matrix_deviceILi256EfPKfPfEvmT0_T1_llT2_lli
	.p2align	8
	.type	_ZL30rocblas_geam_1D_2matrix_deviceILi256EfPKfPfEvmT0_T1_llT2_lli,@function
_ZL30rocblas_geam_1D_2matrix_deviceILi256EfPKfPfEvmT0_T1_llT2_lli: ; @_ZL30rocblas_geam_1D_2matrix_deviceILi256EfPKfPfEvmT0_T1_llT2_lli
; %bb.0:
	s_load_dword s2, s[4:5], 0x54
	s_load_dwordx2 s[0:1], s[4:5], 0x0
	v_mov_b32_e32 v1, 0
	v_mov_b32_e32 v2, s6
	s_waitcnt lgkmcnt(0)
	s_and_b32 s2, s2, 0xffff
	v_mad_u64_u32 v[2:3], s[2:3], s2, v2, v[0:1]
	v_cmp_gt_u64_e32 vcc, s[0:1], v[2:3]
	s_and_saveexec_b64 s[0:1], vcc
	s_cbranch_execz .LBB3_4
; %bb.1:
	s_load_dword s6, s[4:5], 0x8
	s_load_dwordx8 s[8:15], s[4:5], 0x10
	s_load_dwordx4 s[0:3], s[4:5], 0x30
	v_lshlrev_b64 v[2:3], 2, v[2:3]
	s_waitcnt lgkmcnt(0)
	v_cmp_eq_f32_e64 s[4:5], s6, 0
	s_and_b64 vcc, exec, s[4:5]
	s_cbranch_vccnz .LBB3_3
; %bb.2:
	s_mul_i32 s4, s7, s13
	s_mul_hi_u32 s5, s7, s12
	s_add_i32 s5, s5, s4
	s_mul_i32 s4, s7, s12
	s_lshl_b64 s[4:5], s[4:5], 2
	s_add_u32 s8, s8, s4
	s_addc_u32 s9, s9, s5
	s_lshl_b64 s[4:5], s[10:11], 2
	s_add_u32 s4, s8, s4
	s_addc_u32 s5, s9, s5
	v_mov_b32_e32 v1, s5
	v_add_co_u32_e32 v0, vcc, s4, v2
	v_addc_co_u32_e32 v1, vcc, v1, v3, vcc
	global_load_dword v0, v[0:1], off
	s_waitcnt vmcnt(0)
	v_mul_f32_e32 v1, s6, v0
.LBB3_3:
	s_mul_i32 s3, s7, s3
	s_mul_hi_u32 s4, s7, s2
	s_add_i32 s3, s4, s3
	s_mul_i32 s2, s7, s2
	s_lshl_b64 s[2:3], s[2:3], 2
	s_add_u32 s2, s14, s2
	s_addc_u32 s3, s15, s3
	s_lshl_b64 s[0:1], s[0:1], 2
	s_add_u32 s0, s2, s0
	s_addc_u32 s1, s3, s1
	v_mov_b32_e32 v0, s1
	v_add_co_u32_e32 v2, vcc, s0, v2
	v_addc_co_u32_e32 v3, vcc, v0, v3, vcc
	global_store_dword v[2:3], v1, off
.LBB3_4:
	s_endpgm
	.section	.rodata,"a",@progbits
	.p2align	6, 0x0
	.amdhsa_kernel _ZL30rocblas_geam_1D_2matrix_deviceILi256EfPKfPfEvmT0_T1_llT2_lli
		.amdhsa_group_segment_fixed_size 0
		.amdhsa_private_segment_fixed_size 0
		.amdhsa_kernarg_size 328
		.amdhsa_user_sgpr_count 6
		.amdhsa_user_sgpr_private_segment_buffer 1
		.amdhsa_user_sgpr_dispatch_ptr 0
		.amdhsa_user_sgpr_queue_ptr 0
		.amdhsa_user_sgpr_kernarg_segment_ptr 1
		.amdhsa_user_sgpr_dispatch_id 0
		.amdhsa_user_sgpr_flat_scratch_init 0
		.amdhsa_user_sgpr_kernarg_preload_length 0
		.amdhsa_user_sgpr_kernarg_preload_offset 0
		.amdhsa_user_sgpr_private_segment_size 0
		.amdhsa_uses_dynamic_stack 0
		.amdhsa_system_sgpr_private_segment_wavefront_offset 0
		.amdhsa_system_sgpr_workgroup_id_x 1
		.amdhsa_system_sgpr_workgroup_id_y 0
		.amdhsa_system_sgpr_workgroup_id_z 1
		.amdhsa_system_sgpr_workgroup_info 0
		.amdhsa_system_vgpr_workitem_id 0
		.amdhsa_next_free_vgpr 4
		.amdhsa_next_free_sgpr 16
		.amdhsa_accum_offset 4
		.amdhsa_reserve_vcc 1
		.amdhsa_reserve_flat_scratch 0
		.amdhsa_float_round_mode_32 0
		.amdhsa_float_round_mode_16_64 0
		.amdhsa_float_denorm_mode_32 3
		.amdhsa_float_denorm_mode_16_64 3
		.amdhsa_dx10_clamp 1
		.amdhsa_ieee_mode 1
		.amdhsa_fp16_overflow 0
		.amdhsa_tg_split 0
		.amdhsa_exception_fp_ieee_invalid_op 0
		.amdhsa_exception_fp_denorm_src 0
		.amdhsa_exception_fp_ieee_div_zero 0
		.amdhsa_exception_fp_ieee_overflow 0
		.amdhsa_exception_fp_ieee_underflow 0
		.amdhsa_exception_fp_ieee_inexact 0
		.amdhsa_exception_int_div_zero 0
	.end_amdhsa_kernel
	.section	.text._ZL30rocblas_geam_1D_2matrix_deviceILi256EfPKfPfEvmT0_T1_llT2_lli,"axG",@progbits,_ZL30rocblas_geam_1D_2matrix_deviceILi256EfPKfPfEvmT0_T1_llT2_lli,comdat
.Lfunc_end3:
	.size	_ZL30rocblas_geam_1D_2matrix_deviceILi256EfPKfPfEvmT0_T1_llT2_lli, .Lfunc_end3-_ZL30rocblas_geam_1D_2matrix_deviceILi256EfPKfPfEvmT0_T1_llT2_lli
                                        ; -- End function
	.section	.AMDGPU.csdata,"",@progbits
; Kernel info:
; codeLenInByte = 240
; NumSgprs: 20
; NumVgprs: 4
; NumAgprs: 0
; TotalNumVgprs: 4
; ScratchSize: 0
; MemoryBound: 0
; FloatMode: 240
; IeeeMode: 1
; LDSByteSize: 0 bytes/workgroup (compile time only)
; SGPRBlocks: 2
; VGPRBlocks: 0
; NumSGPRsForWavesPerEU: 20
; NumVGPRsForWavesPerEU: 4
; AccumOffset: 4
; Occupancy: 8
; WaveLimiterHint : 0
; COMPUTE_PGM_RSRC2:SCRATCH_EN: 0
; COMPUTE_PGM_RSRC2:USER_SGPR: 6
; COMPUTE_PGM_RSRC2:TRAP_HANDLER: 0
; COMPUTE_PGM_RSRC2:TGID_X_EN: 1
; COMPUTE_PGM_RSRC2:TGID_Y_EN: 0
; COMPUTE_PGM_RSRC2:TGID_Z_EN: 1
; COMPUTE_PGM_RSRC2:TIDIG_COMP_CNT: 0
; COMPUTE_PGM_RSRC3_GFX90A:ACCUM_OFFSET: 0
; COMPUTE_PGM_RSRC3_GFX90A:TG_SPLIT: 0
	.section	.text._ZL27rocblas_geam_2matrix_deviceILi16ELi16EfPKfPfEv18rocblas_operation_iiT1_T2_lllT3_llli,"axG",@progbits,_ZL27rocblas_geam_2matrix_deviceILi16ELi16EfPKfPfEv18rocblas_operation_iiT1_T2_lllT3_llli,comdat
	.globl	_ZL27rocblas_geam_2matrix_deviceILi16ELi16EfPKfPfEv18rocblas_operation_iiT1_T2_lllT3_llli ; -- Begin function _ZL27rocblas_geam_2matrix_deviceILi16ELi16EfPKfPfEv18rocblas_operation_iiT1_T2_lllT3_llli
	.p2align	8
	.type	_ZL27rocblas_geam_2matrix_deviceILi16ELi16EfPKfPfEv18rocblas_operation_iiT1_T2_lllT3_llli,@function
_ZL27rocblas_geam_2matrix_deviceILi16ELi16EfPKfPfEv18rocblas_operation_iiT1_T2_lllT3_llli: ; @_ZL27rocblas_geam_2matrix_deviceILi16ELi16EfPKfPfEv18rocblas_operation_iiT1_T2_lllT3_llli
; %bb.0:
	s_load_dwordx4 s[24:27], s[4:5], 0x0
	v_and_b32_e32 v3, 0x3ff, v0
	v_bfe_u32 v0, v0, 10, 10
	s_waitcnt lgkmcnt(0)
	s_add_i32 s0, s25, -1
	s_ashr_i32 s1, s0, 31
	s_lshr_b32 s1, s1, 28
	s_add_i32 s0, s0, s1
	s_ashr_i32 s0, s0, 4
	s_add_i32 s1, s0, 1
	v_cvt_f32_u32_e32 v1, s1
	s_not_b32 s0, s0
	v_rcp_iflag_f32_e32 v1, v1
	v_mul_f32_e32 v1, 0x4f7ffffe, v1
	v_cvt_u32_f32_e32 v1, v1
	v_readfirstlane_b32 s2, v1
	s_mul_i32 s0, s0, s2
	s_mul_hi_u32 s0, s2, s0
	s_add_i32 s2, s2, s0
	s_mul_hi_u32 s0, s6, s2
	s_mul_i32 s2, s0, s1
	s_sub_i32 s2, s6, s2
	s_add_i32 s3, s0, 1
	s_sub_i32 s8, s2, s1
	s_cmp_ge_u32 s2, s1
	s_cselect_b32 s0, s3, s0
	s_cselect_b32 s2, s8, s2
	s_add_i32 s3, s0, 1
	s_cmp_ge_u32 s2, s1
	s_cselect_b32 s0, s3, s0
	s_mul_i32 s1, s0, s1
	v_lshl_add_u32 v2, s0, 4, v0
	s_sub_i32 s0, s6, s1
	v_lshl_add_u32 v0, s0, 4, v3
	v_cmp_gt_i32_e32 vcc, s25, v0
	v_cmp_gt_i32_e64 s[0:1], s26, v2
	s_and_b64 s[0:1], vcc, s[0:1]
	s_and_saveexec_b64 s[2:3], s[0:1]
	s_cbranch_execz .LBB4_4
; %bb.1:
	s_load_dwordx16 s[8:23], s[4:5], 0x10
	v_cmp_eq_f32_e64 s[0:1], s27, 0
	v_ashrrev_i32_e32 v1, 31, v0
	v_ashrrev_i32_e32 v3, 31, v2
	v_mov_b32_e32 v4, 0
	s_and_b64 vcc, exec, s[0:1]
	s_cbranch_vccnz .LBB4_3
; %bb.2:
	s_waitcnt lgkmcnt(0)
	s_mul_i32 s0, s7, s15
	s_mul_hi_u32 s1, s7, s14
	s_add_i32 s1, s1, s0
	s_mul_i32 s0, s7, s14
	s_lshl_b64 s[0:1], s[0:1], 2
	s_add_u32 s2, s8, s0
	s_addc_u32 s3, s9, s1
	s_lshl_b64 s[0:1], s[10:11], 2
	s_add_u32 s2, s2, s0
	s_addc_u32 s3, s3, s1
	s_cmpk_eq_i32 s24, 0x6f
	s_cselect_b64 vcc, -1, 0
	v_cndmask_b32_e32 v6, v0, v2, vcc
	v_cndmask_b32_e32 v7, v1, v3, vcc
	v_mul_lo_u32 v8, v7, s12
	v_mul_lo_u32 v9, v6, s13
	v_mad_u64_u32 v[6:7], s[0:1], v6, s12, 0
	v_add3_u32 v7, v7, v9, v8
	v_lshlrev_b64 v[6:7], 2, v[6:7]
	v_cndmask_b32_e32 v5, v3, v1, vcc
	v_cndmask_b32_e32 v4, v2, v0, vcc
	v_mov_b32_e32 v8, s3
	v_add_co_u32_e32 v6, vcc, s2, v6
	v_addc_co_u32_e32 v7, vcc, v8, v7, vcc
	v_lshlrev_b64 v[4:5], 2, v[4:5]
	v_add_co_u32_e32 v4, vcc, v6, v4
	v_addc_co_u32_e32 v5, vcc, v7, v5, vcc
	global_load_dword v4, v[4:5], off
	s_waitcnt vmcnt(0)
	v_mul_f32_e32 v4, s27, v4
.LBB4_3:
	s_waitcnt lgkmcnt(0)
	s_mul_i32 s0, s7, s23
	s_mul_hi_u32 s1, s7, s22
	s_add_i32 s1, s1, s0
	s_mul_i32 s0, s7, s22
	s_lshl_b64 s[0:1], s[0:1], 2
	s_add_u32 s2, s16, s0
	s_addc_u32 s3, s17, s1
	s_lshl_b64 s[0:1], s[18:19], 2
	s_add_u32 s2, s2, s0
	s_addc_u32 s3, s3, s1
	v_mul_lo_u32 v5, v3, s20
	v_mul_lo_u32 v6, v2, s21
	v_mad_u64_u32 v[2:3], s[0:1], v2, s20, 0
	v_add3_u32 v3, v3, v6, v5
	v_lshlrev_b64 v[2:3], 2, v[2:3]
	v_mov_b32_e32 v5, s3
	v_add_co_u32_e32 v2, vcc, s2, v2
	v_addc_co_u32_e32 v3, vcc, v5, v3, vcc
	v_lshlrev_b64 v[0:1], 2, v[0:1]
	v_add_co_u32_e32 v0, vcc, v2, v0
	v_addc_co_u32_e32 v1, vcc, v3, v1, vcc
	global_store_dword v[0:1], v4, off
.LBB4_4:
	s_endpgm
	.section	.rodata,"a",@progbits
	.p2align	6, 0x0
	.amdhsa_kernel _ZL27rocblas_geam_2matrix_deviceILi16ELi16EfPKfPfEv18rocblas_operation_iiT1_T2_lllT3_llli
		.amdhsa_group_segment_fixed_size 0
		.amdhsa_private_segment_fixed_size 0
		.amdhsa_kernarg_size 84
		.amdhsa_user_sgpr_count 6
		.amdhsa_user_sgpr_private_segment_buffer 1
		.amdhsa_user_sgpr_dispatch_ptr 0
		.amdhsa_user_sgpr_queue_ptr 0
		.amdhsa_user_sgpr_kernarg_segment_ptr 1
		.amdhsa_user_sgpr_dispatch_id 0
		.amdhsa_user_sgpr_flat_scratch_init 0
		.amdhsa_user_sgpr_kernarg_preload_length 0
		.amdhsa_user_sgpr_kernarg_preload_offset 0
		.amdhsa_user_sgpr_private_segment_size 0
		.amdhsa_uses_dynamic_stack 0
		.amdhsa_system_sgpr_private_segment_wavefront_offset 0
		.amdhsa_system_sgpr_workgroup_id_x 1
		.amdhsa_system_sgpr_workgroup_id_y 0
		.amdhsa_system_sgpr_workgroup_id_z 1
		.amdhsa_system_sgpr_workgroup_info 0
		.amdhsa_system_vgpr_workitem_id 1
		.amdhsa_next_free_vgpr 10
		.amdhsa_next_free_sgpr 28
		.amdhsa_accum_offset 12
		.amdhsa_reserve_vcc 1
		.amdhsa_reserve_flat_scratch 0
		.amdhsa_float_round_mode_32 0
		.amdhsa_float_round_mode_16_64 0
		.amdhsa_float_denorm_mode_32 3
		.amdhsa_float_denorm_mode_16_64 3
		.amdhsa_dx10_clamp 1
		.amdhsa_ieee_mode 1
		.amdhsa_fp16_overflow 0
		.amdhsa_tg_split 0
		.amdhsa_exception_fp_ieee_invalid_op 0
		.amdhsa_exception_fp_denorm_src 0
		.amdhsa_exception_fp_ieee_div_zero 0
		.amdhsa_exception_fp_ieee_overflow 0
		.amdhsa_exception_fp_ieee_underflow 0
		.amdhsa_exception_fp_ieee_inexact 0
		.amdhsa_exception_int_div_zero 0
	.end_amdhsa_kernel
	.section	.text._ZL27rocblas_geam_2matrix_deviceILi16ELi16EfPKfPfEv18rocblas_operation_iiT1_T2_lllT3_llli,"axG",@progbits,_ZL27rocblas_geam_2matrix_deviceILi16ELi16EfPKfPfEv18rocblas_operation_iiT1_T2_lllT3_llli,comdat
.Lfunc_end4:
	.size	_ZL27rocblas_geam_2matrix_deviceILi16ELi16EfPKfPfEv18rocblas_operation_iiT1_T2_lllT3_llli, .Lfunc_end4-_ZL27rocblas_geam_2matrix_deviceILi16ELi16EfPKfPfEv18rocblas_operation_iiT1_T2_lllT3_llli
                                        ; -- End function
	.section	.AMDGPU.csdata,"",@progbits
; Kernel info:
; codeLenInByte = 496
; NumSgprs: 32
; NumVgprs: 10
; NumAgprs: 0
; TotalNumVgprs: 10
; ScratchSize: 0
; MemoryBound: 0
; FloatMode: 240
; IeeeMode: 1
; LDSByteSize: 0 bytes/workgroup (compile time only)
; SGPRBlocks: 3
; VGPRBlocks: 1
; NumSGPRsForWavesPerEU: 32
; NumVGPRsForWavesPerEU: 10
; AccumOffset: 12
; Occupancy: 8
; WaveLimiterHint : 0
; COMPUTE_PGM_RSRC2:SCRATCH_EN: 0
; COMPUTE_PGM_RSRC2:USER_SGPR: 6
; COMPUTE_PGM_RSRC2:TRAP_HANDLER: 0
; COMPUTE_PGM_RSRC2:TGID_X_EN: 1
; COMPUTE_PGM_RSRC2:TGID_Y_EN: 0
; COMPUTE_PGM_RSRC2:TGID_Z_EN: 1
; COMPUTE_PGM_RSRC2:TIDIG_COMP_CNT: 1
; COMPUTE_PGM_RSRC3_GFX90A:ACCUM_OFFSET: 2
; COMPUTE_PGM_RSRC3_GFX90A:TG_SPLIT: 0
	.section	.text._ZL22rocblas_geam_1D_deviceILi256EfPKfPfEvmT0_T1_llS3_S4_llT2_lli,"axG",@progbits,_ZL22rocblas_geam_1D_deviceILi256EfPKfPfEvmT0_T1_llS3_S4_llT2_lli,comdat
	.globl	_ZL22rocblas_geam_1D_deviceILi256EfPKfPfEvmT0_T1_llS3_S4_llT2_lli ; -- Begin function _ZL22rocblas_geam_1D_deviceILi256EfPKfPfEvmT0_T1_llS3_S4_llT2_lli
	.p2align	8
	.type	_ZL22rocblas_geam_1D_deviceILi256EfPKfPfEvmT0_T1_llS3_S4_llT2_lli,@function
_ZL22rocblas_geam_1D_deviceILi256EfPKfPfEvmT0_T1_llS3_S4_llT2_lli: ; @_ZL22rocblas_geam_1D_deviceILi256EfPKfPfEvmT0_T1_llS3_S4_llT2_lli
; %bb.0:
	s_load_dword s2, s[4:5], 0x74
	s_load_dwordx2 s[0:1], s[4:5], 0x0
	v_mov_b32_e32 v1, 0
	v_mov_b32_e32 v2, s6
	s_waitcnt lgkmcnt(0)
	s_and_b32 s2, s2, 0xffff
	v_mad_u64_u32 v[2:3], s[2:3], s2, v2, v[0:1]
	v_cmp_gt_u64_e32 vcc, s[0:1], v[2:3]
	s_and_saveexec_b64 s[0:1], vcc
	s_cbranch_execz .LBB5_8
; %bb.1:
	s_load_dword s6, s[4:5], 0x8
	s_load_dword s20, s[4:5], 0x28
	s_load_dwordx8 s[8:15], s[4:5], 0x30
	s_load_dwordx4 s[0:3], s[4:5], 0x50
	s_waitcnt lgkmcnt(0)
	v_cmp_eq_f32_e64 s[16:17], s6, 0
	v_cmp_eq_f32_e64 s[18:19], s20, 0
	s_and_b64 s[22:23], s[16:17], s[18:19]
	s_and_b64 vcc, exec, s[22:23]
	s_cbranch_vccnz .LBB5_7
; %bb.2:
	v_mov_b32_e32 v1, 0
	s_and_b64 vcc, exec, s[18:19]
	v_mov_b32_e32 v0, 0
	s_cbranch_vccnz .LBB5_4
; %bb.3:
	s_mul_i32 s13, s7, s13
	s_mul_hi_u32 s18, s7, s12
	s_add_i32 s13, s18, s13
	s_mul_i32 s12, s7, s12
	s_lshl_b64 s[12:13], s[12:13], 2
	s_add_u32 s12, s8, s12
	s_addc_u32 s13, s9, s13
	s_lshl_b64 s[8:9], s[10:11], 2
	s_add_u32 s8, s12, s8
	s_addc_u32 s9, s13, s9
	v_lshlrev_b64 v[4:5], 2, v[2:3]
	v_mov_b32_e32 v0, s9
	v_add_co_u32_e32 v4, vcc, s8, v4
	v_addc_co_u32_e32 v5, vcc, v0, v5, vcc
	global_load_dword v0, v[4:5], off
	s_waitcnt vmcnt(0)
	v_mul_f32_e32 v0, s20, v0
.LBB5_4:
	s_and_b64 vcc, exec, s[16:17]
	s_cbranch_vccnz .LBB5_6
; %bb.5:
	s_load_dwordx2 s[12:13], s[4:5], 0x20
	s_load_dwordx4 s[8:11], s[4:5], 0x10
	v_lshlrev_b64 v[4:5], 2, v[2:3]
	s_waitcnt lgkmcnt(0)
	s_mul_i32 s5, s7, s13
	s_mul_hi_u32 s13, s7, s12
	s_mul_i32 s4, s7, s12
	s_add_i32 s5, s13, s5
	s_lshl_b64 s[4:5], s[4:5], 2
	s_add_u32 s8, s8, s4
	s_addc_u32 s9, s9, s5
	s_lshl_b64 s[4:5], s[10:11], 2
	s_add_u32 s4, s8, s4
	s_addc_u32 s5, s9, s5
	v_mov_b32_e32 v1, s5
	v_add_co_u32_e32 v4, vcc, s4, v4
	v_addc_co_u32_e32 v5, vcc, v1, v5, vcc
	global_load_dword v1, v[4:5], off
	s_waitcnt vmcnt(0)
	v_mul_f32_e32 v1, s6, v1
.LBB5_6:
	v_add_f32_e32 v1, v0, v1
.LBB5_7:
	s_mul_i32 s3, s7, s3
	s_mul_hi_u32 s4, s7, s2
	s_add_i32 s3, s4, s3
	s_mul_i32 s2, s7, s2
	s_lshl_b64 s[2:3], s[2:3], 2
	s_add_u32 s2, s14, s2
	s_addc_u32 s3, s15, s3
	s_lshl_b64 s[0:1], s[0:1], 2
	s_add_u32 s0, s2, s0
	s_addc_u32 s1, s3, s1
	v_lshlrev_b64 v[2:3], 2, v[2:3]
	v_mov_b32_e32 v0, s1
	v_add_co_u32_e32 v2, vcc, s0, v2
	v_addc_co_u32_e32 v3, vcc, v0, v3, vcc
	global_store_dword v[2:3], v1, off
.LBB5_8:
	s_endpgm
	.section	.rodata,"a",@progbits
	.p2align	6, 0x0
	.amdhsa_kernel _ZL22rocblas_geam_1D_deviceILi256EfPKfPfEvmT0_T1_llS3_S4_llT2_lli
		.amdhsa_group_segment_fixed_size 0
		.amdhsa_private_segment_fixed_size 0
		.amdhsa_kernarg_size 360
		.amdhsa_user_sgpr_count 6
		.amdhsa_user_sgpr_private_segment_buffer 1
		.amdhsa_user_sgpr_dispatch_ptr 0
		.amdhsa_user_sgpr_queue_ptr 0
		.amdhsa_user_sgpr_kernarg_segment_ptr 1
		.amdhsa_user_sgpr_dispatch_id 0
		.amdhsa_user_sgpr_flat_scratch_init 0
		.amdhsa_user_sgpr_kernarg_preload_length 0
		.amdhsa_user_sgpr_kernarg_preload_offset 0
		.amdhsa_user_sgpr_private_segment_size 0
		.amdhsa_uses_dynamic_stack 0
		.amdhsa_system_sgpr_private_segment_wavefront_offset 0
		.amdhsa_system_sgpr_workgroup_id_x 1
		.amdhsa_system_sgpr_workgroup_id_y 0
		.amdhsa_system_sgpr_workgroup_id_z 1
		.amdhsa_system_sgpr_workgroup_info 0
		.amdhsa_system_vgpr_workitem_id 0
		.amdhsa_next_free_vgpr 6
		.amdhsa_next_free_sgpr 24
		.amdhsa_accum_offset 8
		.amdhsa_reserve_vcc 1
		.amdhsa_reserve_flat_scratch 0
		.amdhsa_float_round_mode_32 0
		.amdhsa_float_round_mode_16_64 0
		.amdhsa_float_denorm_mode_32 3
		.amdhsa_float_denorm_mode_16_64 3
		.amdhsa_dx10_clamp 1
		.amdhsa_ieee_mode 1
		.amdhsa_fp16_overflow 0
		.amdhsa_tg_split 0
		.amdhsa_exception_fp_ieee_invalid_op 0
		.amdhsa_exception_fp_denorm_src 0
		.amdhsa_exception_fp_ieee_div_zero 0
		.amdhsa_exception_fp_ieee_overflow 0
		.amdhsa_exception_fp_ieee_underflow 0
		.amdhsa_exception_fp_ieee_inexact 0
		.amdhsa_exception_int_div_zero 0
	.end_amdhsa_kernel
	.section	.text._ZL22rocblas_geam_1D_deviceILi256EfPKfPfEvmT0_T1_llS3_S4_llT2_lli,"axG",@progbits,_ZL22rocblas_geam_1D_deviceILi256EfPKfPfEvmT0_T1_llS3_S4_llT2_lli,comdat
.Lfunc_end5:
	.size	_ZL22rocblas_geam_1D_deviceILi256EfPKfPfEvmT0_T1_llS3_S4_llT2_lli, .Lfunc_end5-_ZL22rocblas_geam_1D_deviceILi256EfPKfPfEvmT0_T1_llS3_S4_llT2_lli
                                        ; -- End function
	.section	.AMDGPU.csdata,"",@progbits
; Kernel info:
; codeLenInByte = 392
; NumSgprs: 28
; NumVgprs: 6
; NumAgprs: 0
; TotalNumVgprs: 6
; ScratchSize: 0
; MemoryBound: 0
; FloatMode: 240
; IeeeMode: 1
; LDSByteSize: 0 bytes/workgroup (compile time only)
; SGPRBlocks: 3
; VGPRBlocks: 0
; NumSGPRsForWavesPerEU: 28
; NumVGPRsForWavesPerEU: 6
; AccumOffset: 8
; Occupancy: 8
; WaveLimiterHint : 0
; COMPUTE_PGM_RSRC2:SCRATCH_EN: 0
; COMPUTE_PGM_RSRC2:USER_SGPR: 6
; COMPUTE_PGM_RSRC2:TRAP_HANDLER: 0
; COMPUTE_PGM_RSRC2:TGID_X_EN: 1
; COMPUTE_PGM_RSRC2:TGID_Y_EN: 0
; COMPUTE_PGM_RSRC2:TGID_Z_EN: 1
; COMPUTE_PGM_RSRC2:TIDIG_COMP_CNT: 0
; COMPUTE_PGM_RSRC3_GFX90A:ACCUM_OFFSET: 1
; COMPUTE_PGM_RSRC3_GFX90A:TG_SPLIT: 0
	.section	.text._ZL22rocblas_geam_1D_deviceILi256EPKfS1_PfEvmT0_T1_llS3_S4_llT2_lli,"axG",@progbits,_ZL22rocblas_geam_1D_deviceILi256EPKfS1_PfEvmT0_T1_llS3_S4_llT2_lli,comdat
	.globl	_ZL22rocblas_geam_1D_deviceILi256EPKfS1_PfEvmT0_T1_llS3_S4_llT2_lli ; -- Begin function _ZL22rocblas_geam_1D_deviceILi256EPKfS1_PfEvmT0_T1_llS3_S4_llT2_lli
	.p2align	8
	.type	_ZL22rocblas_geam_1D_deviceILi256EPKfS1_PfEvmT0_T1_llS3_S4_llT2_lli,@function
_ZL22rocblas_geam_1D_deviceILi256EPKfS1_PfEvmT0_T1_llS3_S4_llT2_lli: ; @_ZL22rocblas_geam_1D_deviceILi256EPKfS1_PfEvmT0_T1_llS3_S4_llT2_lli
; %bb.0:
	s_load_dword s0, s[4:5], 0x74
	s_load_dwordx16 s[8:23], s[4:5], 0x0
	v_mov_b32_e32 v1, 0
	v_mov_b32_e32 v2, s6
	s_waitcnt lgkmcnt(0)
	s_and_b32 s0, s0, 0xffff
	v_mad_u64_u32 v[2:3], s[0:1], s0, v2, v[0:1]
	v_cmp_gt_u64_e32 vcc, s[8:9], v[2:3]
	s_and_saveexec_b64 s[0:1], vcc
	s_cbranch_execz .LBB6_8
; %bb.1:
	s_load_dword s6, s[10:11], 0x0
	s_load_dword s8, s[18:19], 0x0
	s_load_dwordx8 s[24:31], s[4:5], 0x40
	s_waitcnt lgkmcnt(0)
	v_cmp_eq_f32_e64 s[0:1], s6, 0
	v_cmp_eq_f32_e64 s[2:3], s8, 0
	s_and_b64 s[4:5], s[0:1], s[2:3]
	s_and_b64 vcc, exec, s[4:5]
	s_cbranch_vccnz .LBB6_7
; %bb.2:
	v_mov_b32_e32 v0, 0
	s_and_b64 vcc, exec, s[2:3]
	v_mov_b32_e32 v1, 0
	s_cbranch_vccnz .LBB6_4
; %bb.3:
	s_mul_i32 s2, s7, s25
	s_mul_hi_u32 s3, s7, s24
	s_add_i32 s3, s3, s2
	s_mul_i32 s2, s7, s24
	s_lshl_b64 s[2:3], s[2:3], 2
	s_add_u32 s4, s20, s2
	s_addc_u32 s5, s21, s3
	s_lshl_b64 s[2:3], s[22:23], 2
	s_add_u32 s2, s4, s2
	s_addc_u32 s3, s5, s3
	v_lshlrev_b64 v[4:5], 2, v[2:3]
	v_mov_b32_e32 v1, s3
	v_add_co_u32_e32 v4, vcc, s2, v4
	v_addc_co_u32_e32 v5, vcc, v1, v5, vcc
	global_load_dword v1, v[4:5], off
	s_waitcnt vmcnt(0)
	v_mul_f32_e32 v1, s8, v1
.LBB6_4:
	s_and_b64 vcc, exec, s[0:1]
	s_cbranch_vccnz .LBB6_6
; %bb.5:
	s_mul_i32 s0, s7, s17
	s_mul_hi_u32 s1, s7, s16
	s_add_i32 s1, s1, s0
	s_mul_i32 s0, s7, s16
	s_lshl_b64 s[0:1], s[0:1], 2
	s_add_u32 s2, s12, s0
	s_addc_u32 s3, s13, s1
	s_lshl_b64 s[0:1], s[14:15], 2
	s_add_u32 s0, s2, s0
	s_addc_u32 s1, s3, s1
	v_lshlrev_b64 v[4:5], 2, v[2:3]
	v_mov_b32_e32 v0, s1
	v_add_co_u32_e32 v4, vcc, s0, v4
	v_addc_co_u32_e32 v5, vcc, v0, v5, vcc
	global_load_dword v0, v[4:5], off
	s_waitcnt vmcnt(0)
	v_mul_f32_e32 v0, s6, v0
.LBB6_6:
	v_add_f32_e32 v1, v1, v0
.LBB6_7:
	s_mul_i32 s0, s7, s31
	s_mul_hi_u32 s1, s7, s30
	s_add_i32 s1, s1, s0
	s_mul_i32 s0, s7, s30
	s_lshl_b64 s[0:1], s[0:1], 2
	s_add_u32 s2, s26, s0
	s_addc_u32 s3, s27, s1
	s_lshl_b64 s[0:1], s[28:29], 2
	s_add_u32 s0, s2, s0
	s_addc_u32 s1, s3, s1
	v_lshlrev_b64 v[2:3], 2, v[2:3]
	v_mov_b32_e32 v0, s1
	v_add_co_u32_e32 v2, vcc, s0, v2
	v_addc_co_u32_e32 v3, vcc, v0, v3, vcc
	global_store_dword v[2:3], v1, off
.LBB6_8:
	s_endpgm
	.section	.rodata,"a",@progbits
	.p2align	6, 0x0
	.amdhsa_kernel _ZL22rocblas_geam_1D_deviceILi256EPKfS1_PfEvmT0_T1_llS3_S4_llT2_lli
		.amdhsa_group_segment_fixed_size 0
		.amdhsa_private_segment_fixed_size 0
		.amdhsa_kernarg_size 360
		.amdhsa_user_sgpr_count 6
		.amdhsa_user_sgpr_private_segment_buffer 1
		.amdhsa_user_sgpr_dispatch_ptr 0
		.amdhsa_user_sgpr_queue_ptr 0
		.amdhsa_user_sgpr_kernarg_segment_ptr 1
		.amdhsa_user_sgpr_dispatch_id 0
		.amdhsa_user_sgpr_flat_scratch_init 0
		.amdhsa_user_sgpr_kernarg_preload_length 0
		.amdhsa_user_sgpr_kernarg_preload_offset 0
		.amdhsa_user_sgpr_private_segment_size 0
		.amdhsa_uses_dynamic_stack 0
		.amdhsa_system_sgpr_private_segment_wavefront_offset 0
		.amdhsa_system_sgpr_workgroup_id_x 1
		.amdhsa_system_sgpr_workgroup_id_y 0
		.amdhsa_system_sgpr_workgroup_id_z 1
		.amdhsa_system_sgpr_workgroup_info 0
		.amdhsa_system_vgpr_workitem_id 0
		.amdhsa_next_free_vgpr 6
		.amdhsa_next_free_sgpr 32
		.amdhsa_accum_offset 8
		.amdhsa_reserve_vcc 1
		.amdhsa_reserve_flat_scratch 0
		.amdhsa_float_round_mode_32 0
		.amdhsa_float_round_mode_16_64 0
		.amdhsa_float_denorm_mode_32 3
		.amdhsa_float_denorm_mode_16_64 3
		.amdhsa_dx10_clamp 1
		.amdhsa_ieee_mode 1
		.amdhsa_fp16_overflow 0
		.amdhsa_tg_split 0
		.amdhsa_exception_fp_ieee_invalid_op 0
		.amdhsa_exception_fp_denorm_src 0
		.amdhsa_exception_fp_ieee_div_zero 0
		.amdhsa_exception_fp_ieee_overflow 0
		.amdhsa_exception_fp_ieee_underflow 0
		.amdhsa_exception_fp_ieee_inexact 0
		.amdhsa_exception_int_div_zero 0
	.end_amdhsa_kernel
	.section	.text._ZL22rocblas_geam_1D_deviceILi256EPKfS1_PfEvmT0_T1_llS3_S4_llT2_lli,"axG",@progbits,_ZL22rocblas_geam_1D_deviceILi256EPKfS1_PfEvmT0_T1_llS3_S4_llT2_lli,comdat
.Lfunc_end6:
	.size	_ZL22rocblas_geam_1D_deviceILi256EPKfS1_PfEvmT0_T1_llS3_S4_llT2_lli, .Lfunc_end6-_ZL22rocblas_geam_1D_deviceILi256EPKfS1_PfEvmT0_T1_llS3_S4_llT2_lli
                                        ; -- End function
	.section	.AMDGPU.csdata,"",@progbits
; Kernel info:
; codeLenInByte = 364
; NumSgprs: 36
; NumVgprs: 6
; NumAgprs: 0
; TotalNumVgprs: 6
; ScratchSize: 0
; MemoryBound: 0
; FloatMode: 240
; IeeeMode: 1
; LDSByteSize: 0 bytes/workgroup (compile time only)
; SGPRBlocks: 4
; VGPRBlocks: 0
; NumSGPRsForWavesPerEU: 36
; NumVGPRsForWavesPerEU: 6
; AccumOffset: 8
; Occupancy: 8
; WaveLimiterHint : 0
; COMPUTE_PGM_RSRC2:SCRATCH_EN: 0
; COMPUTE_PGM_RSRC2:USER_SGPR: 6
; COMPUTE_PGM_RSRC2:TRAP_HANDLER: 0
; COMPUTE_PGM_RSRC2:TGID_X_EN: 1
; COMPUTE_PGM_RSRC2:TGID_Y_EN: 0
; COMPUTE_PGM_RSRC2:TGID_Z_EN: 1
; COMPUTE_PGM_RSRC2:TIDIG_COMP_CNT: 0
; COMPUTE_PGM_RSRC3_GFX90A:ACCUM_OFFSET: 1
; COMPUTE_PGM_RSRC3_GFX90A:TG_SPLIT: 0
	.section	.text._ZL19rocblas_geam_deviceILi16ELi16EfPKfPfEv18rocblas_operation_S3_iiT1_T2_lllS4_S5_lllT3_llli,"axG",@progbits,_ZL19rocblas_geam_deviceILi16ELi16EfPKfPfEv18rocblas_operation_S3_iiT1_T2_lllS4_S5_lllT3_llli,comdat
	.globl	_ZL19rocblas_geam_deviceILi16ELi16EfPKfPfEv18rocblas_operation_S3_iiT1_T2_lllS4_S5_lllT3_llli ; -- Begin function _ZL19rocblas_geam_deviceILi16ELi16EfPKfPfEv18rocblas_operation_S3_iiT1_T2_lllS4_S5_lllT3_llli
	.p2align	8
	.type	_ZL19rocblas_geam_deviceILi16ELi16EfPKfPfEv18rocblas_operation_S3_iiT1_T2_lllS4_S5_lllT3_llli,@function
_ZL19rocblas_geam_deviceILi16ELi16EfPKfPfEv18rocblas_operation_S3_iiT1_T2_lllS4_S5_lllT3_llli: ; @_ZL19rocblas_geam_deviceILi16ELi16EfPKfPfEv18rocblas_operation_S3_iiT1_T2_lllS4_S5_lllT3_llli
; %bb.0:
	s_load_dwordx4 s[24:27], s[4:5], 0x0
	v_and_b32_e32 v3, 0x3ff, v0
	v_bfe_u32 v0, v0, 10, 10
	s_waitcnt lgkmcnt(0)
	s_add_i32 s0, s26, -1
	s_ashr_i32 s1, s0, 31
	s_lshr_b32 s1, s1, 28
	s_add_i32 s0, s0, s1
	s_ashr_i32 s0, s0, 4
	s_add_i32 s1, s0, 1
	v_cvt_f32_u32_e32 v1, s1
	s_not_b32 s0, s0
	v_rcp_iflag_f32_e32 v1, v1
	v_mul_f32_e32 v1, 0x4f7ffffe, v1
	v_cvt_u32_f32_e32 v1, v1
	v_readfirstlane_b32 s2, v1
	s_mul_i32 s0, s0, s2
	s_mul_hi_u32 s0, s2, s0
	s_add_i32 s2, s2, s0
	s_mul_hi_u32 s0, s6, s2
	s_mul_i32 s2, s0, s1
	s_sub_i32 s2, s6, s2
	s_add_i32 s3, s0, 1
	s_sub_i32 s8, s2, s1
	s_cmp_ge_u32 s2, s1
	s_cselect_b32 s0, s3, s0
	s_cselect_b32 s2, s8, s2
	s_add_i32 s3, s0, 1
	s_cmp_ge_u32 s2, s1
	s_cselect_b32 s0, s3, s0
	s_mul_i32 s1, s0, s1
	v_lshl_add_u32 v2, s0, 4, v0
	s_sub_i32 s0, s6, s1
	v_lshl_add_u32 v0, s0, 4, v3
	v_cmp_gt_i32_e32 vcc, s26, v0
	v_cmp_gt_i32_e64 s[0:1], s27, v2
	s_and_b64 s[0:1], vcc, s[0:1]
	s_and_saveexec_b64 s[2:3], s[0:1]
	s_cbranch_execz .LBB7_6
; %bb.1:
	s_load_dword s0, s[4:5], 0x10
	v_ashrrev_i32_e32 v1, 31, v0
	v_ashrrev_i32_e32 v3, 31, v2
	v_mov_b32_e32 v4, 0
	v_mov_b32_e32 v5, 0
	s_waitcnt lgkmcnt(0)
	v_cmp_eq_f32_e64 s[2:3], s0, 0
	s_and_b64 vcc, exec, s[2:3]
	s_cbranch_vccnz .LBB7_3
; %bb.2:
	s_load_dwordx8 s[8:15], s[4:5], 0x18
	s_cmpk_eq_i32 s24, 0x6f
	s_cselect_b64 vcc, -1, 0
	v_cndmask_b32_e32 v5, v0, v2, vcc
	v_cndmask_b32_e32 v6, v1, v3, vcc
	s_waitcnt lgkmcnt(0)
	v_mul_lo_u32 v8, v6, s12
	v_mad_u64_u32 v[6:7], s[2:3], v5, s12, 0
	s_mul_i32 s1, s7, s15
	s_mul_hi_u32 s2, s7, s14
	s_add_i32 s3, s2, s1
	s_mul_i32 s2, s7, s14
	s_lshl_b64 s[2:3], s[2:3], 2
	s_add_u32 s1, s8, s2
	v_mul_lo_u32 v9, v5, s13
	s_addc_u32 s6, s9, s3
	s_lshl_b64 s[2:3], s[10:11], 2
	v_add3_u32 v7, v7, v9, v8
	s_add_u32 s1, s1, s2
	s_addc_u32 s2, s6, s3
	v_lshlrev_b64 v[6:7], 2, v[6:7]
	v_cndmask_b32_e32 v9, v3, v1, vcc
	v_cndmask_b32_e32 v8, v2, v0, vcc
	v_mov_b32_e32 v5, s2
	v_add_co_u32_e32 v10, vcc, s1, v6
	v_addc_co_u32_e32 v5, vcc, v5, v7, vcc
	v_lshlrev_b64 v[6:7], 2, v[8:9]
	v_add_co_u32_e32 v6, vcc, v10, v6
	v_addc_co_u32_e32 v7, vcc, v5, v7, vcc
	global_load_dword v5, v[6:7], off
.LBB7_3:
	s_load_dword s1, s[4:5], 0x38
	s_load_dwordx16 s[8:23], s[4:5], 0x40
	s_waitcnt lgkmcnt(0)
	v_cmp_eq_f32_e64 s[2:3], s1, 0
	s_and_b64 vcc, exec, s[2:3]
	s_cbranch_vccnz .LBB7_5
; %bb.4:
	s_mul_i32 s2, s7, s15
	s_mul_hi_u32 s3, s7, s14
	s_add_i32 s3, s3, s2
	s_mul_i32 s2, s7, s14
	s_lshl_b64 s[2:3], s[2:3], 2
	s_add_u32 s4, s8, s2
	s_addc_u32 s5, s9, s3
	s_lshl_b64 s[2:3], s[10:11], 2
	s_add_u32 s4, s4, s2
	s_addc_u32 s5, s5, s3
	s_cmpk_eq_i32 s25, 0x6f
	s_cselect_b64 vcc, -1, 0
	v_cndmask_b32_e32 v4, v0, v2, vcc
	v_cndmask_b32_e32 v8, v1, v3, vcc
	v_mul_lo_u32 v10, v8, s12
	v_mul_lo_u32 v11, v4, s13
	v_mad_u64_u32 v[8:9], s[2:3], v4, s12, 0
	v_add3_u32 v9, v9, v11, v10
	v_lshlrev_b64 v[8:9], 2, v[8:9]
	v_cndmask_b32_e32 v7, v3, v1, vcc
	v_cndmask_b32_e32 v6, v2, v0, vcc
	v_mov_b32_e32 v4, s5
	v_add_co_u32_e32 v8, vcc, s4, v8
	v_addc_co_u32_e32 v4, vcc, v4, v9, vcc
	v_lshlrev_b64 v[6:7], 2, v[6:7]
	v_add_co_u32_e32 v6, vcc, v8, v6
	v_addc_co_u32_e32 v7, vcc, v4, v7, vcc
	global_load_dword v4, v[6:7], off
.LBB7_5:
	s_mul_i32 s2, s7, s23
	s_mul_hi_u32 s3, s7, s22
	s_add_i32 s3, s3, s2
	s_mul_i32 s2, s7, s22
	s_lshl_b64 s[2:3], s[2:3], 2
	s_add_u32 s4, s16, s2
	s_addc_u32 s5, s17, s3
	s_lshl_b64 s[2:3], s[18:19], 2
	s_add_u32 s4, s4, s2
	s_addc_u32 s5, s5, s3
	v_mul_lo_u32 v6, v3, s20
	v_mul_lo_u32 v7, v2, s21
	v_mad_u64_u32 v[2:3], s[2:3], v2, s20, 0
	v_add3_u32 v3, v3, v7, v6
	s_waitcnt vmcnt(0)
	v_mul_f32_e32 v4, s1, v4
	v_lshlrev_b64 v[2:3], 2, v[2:3]
	v_fmac_f32_e32 v4, s0, v5
	v_mov_b32_e32 v5, s5
	v_add_co_u32_e32 v2, vcc, s4, v2
	v_addc_co_u32_e32 v3, vcc, v5, v3, vcc
	v_lshlrev_b64 v[0:1], 2, v[0:1]
	v_add_co_u32_e32 v0, vcc, v2, v0
	v_addc_co_u32_e32 v1, vcc, v3, v1, vcc
	global_store_dword v[0:1], v4, off
.LBB7_6:
	s_endpgm
	.section	.rodata,"a",@progbits
	.p2align	6, 0x0
	.amdhsa_kernel _ZL19rocblas_geam_deviceILi16ELi16EfPKfPfEv18rocblas_operation_S3_iiT1_T2_lllS4_S5_lllT3_llli
		.amdhsa_group_segment_fixed_size 0
		.amdhsa_private_segment_fixed_size 0
		.amdhsa_kernarg_size 132
		.amdhsa_user_sgpr_count 6
		.amdhsa_user_sgpr_private_segment_buffer 1
		.amdhsa_user_sgpr_dispatch_ptr 0
		.amdhsa_user_sgpr_queue_ptr 0
		.amdhsa_user_sgpr_kernarg_segment_ptr 1
		.amdhsa_user_sgpr_dispatch_id 0
		.amdhsa_user_sgpr_flat_scratch_init 0
		.amdhsa_user_sgpr_kernarg_preload_length 0
		.amdhsa_user_sgpr_kernarg_preload_offset 0
		.amdhsa_user_sgpr_private_segment_size 0
		.amdhsa_uses_dynamic_stack 0
		.amdhsa_system_sgpr_private_segment_wavefront_offset 0
		.amdhsa_system_sgpr_workgroup_id_x 1
		.amdhsa_system_sgpr_workgroup_id_y 0
		.amdhsa_system_sgpr_workgroup_id_z 1
		.amdhsa_system_sgpr_workgroup_info 0
		.amdhsa_system_vgpr_workitem_id 1
		.amdhsa_next_free_vgpr 12
		.amdhsa_next_free_sgpr 28
		.amdhsa_accum_offset 12
		.amdhsa_reserve_vcc 1
		.amdhsa_reserve_flat_scratch 0
		.amdhsa_float_round_mode_32 0
		.amdhsa_float_round_mode_16_64 0
		.amdhsa_float_denorm_mode_32 3
		.amdhsa_float_denorm_mode_16_64 3
		.amdhsa_dx10_clamp 1
		.amdhsa_ieee_mode 1
		.amdhsa_fp16_overflow 0
		.amdhsa_tg_split 0
		.amdhsa_exception_fp_ieee_invalid_op 0
		.amdhsa_exception_fp_denorm_src 0
		.amdhsa_exception_fp_ieee_div_zero 0
		.amdhsa_exception_fp_ieee_overflow 0
		.amdhsa_exception_fp_ieee_underflow 0
		.amdhsa_exception_fp_ieee_inexact 0
		.amdhsa_exception_int_div_zero 0
	.end_amdhsa_kernel
	.section	.text._ZL19rocblas_geam_deviceILi16ELi16EfPKfPfEv18rocblas_operation_S3_iiT1_T2_lllS4_S5_lllT3_llli,"axG",@progbits,_ZL19rocblas_geam_deviceILi16ELi16EfPKfPfEv18rocblas_operation_S3_iiT1_T2_lllS4_S5_lllT3_llli,comdat
.Lfunc_end7:
	.size	_ZL19rocblas_geam_deviceILi16ELi16EfPKfPfEv18rocblas_operation_S3_iiT1_T2_lllS4_S5_lllT3_llli, .Lfunc_end7-_ZL19rocblas_geam_deviceILi16ELi16EfPKfPfEv18rocblas_operation_S3_iiT1_T2_lllS4_S5_lllT3_llli
                                        ; -- End function
	.section	.AMDGPU.csdata,"",@progbits
; Kernel info:
; codeLenInByte = 688
; NumSgprs: 32
; NumVgprs: 12
; NumAgprs: 0
; TotalNumVgprs: 12
; ScratchSize: 0
; MemoryBound: 0
; FloatMode: 240
; IeeeMode: 1
; LDSByteSize: 0 bytes/workgroup (compile time only)
; SGPRBlocks: 3
; VGPRBlocks: 1
; NumSGPRsForWavesPerEU: 32
; NumVGPRsForWavesPerEU: 12
; AccumOffset: 12
; Occupancy: 8
; WaveLimiterHint : 0
; COMPUTE_PGM_RSRC2:SCRATCH_EN: 0
; COMPUTE_PGM_RSRC2:USER_SGPR: 6
; COMPUTE_PGM_RSRC2:TRAP_HANDLER: 0
; COMPUTE_PGM_RSRC2:TGID_X_EN: 1
; COMPUTE_PGM_RSRC2:TGID_Y_EN: 0
; COMPUTE_PGM_RSRC2:TGID_Z_EN: 1
; COMPUTE_PGM_RSRC2:TIDIG_COMP_CNT: 1
; COMPUTE_PGM_RSRC3_GFX90A:ACCUM_OFFSET: 2
; COMPUTE_PGM_RSRC3_GFX90A:TG_SPLIT: 0
	.section	.text._ZL19rocblas_geam_deviceILi16ELi16EPKfS1_PfEv18rocblas_operation_S3_iiT1_T2_lllS4_S5_lllT3_llli,"axG",@progbits,_ZL19rocblas_geam_deviceILi16ELi16EPKfS1_PfEv18rocblas_operation_S3_iiT1_T2_lllS4_S5_lllT3_llli,comdat
	.globl	_ZL19rocblas_geam_deviceILi16ELi16EPKfS1_PfEv18rocblas_operation_S3_iiT1_T2_lllS4_S5_lllT3_llli ; -- Begin function _ZL19rocblas_geam_deviceILi16ELi16EPKfS1_PfEv18rocblas_operation_S3_iiT1_T2_lllS4_S5_lllT3_llli
	.p2align	8
	.type	_ZL19rocblas_geam_deviceILi16ELi16EPKfS1_PfEv18rocblas_operation_S3_iiT1_T2_lllS4_S5_lllT3_llli,@function
_ZL19rocblas_geam_deviceILi16ELi16EPKfS1_PfEv18rocblas_operation_S3_iiT1_T2_lllS4_S5_lllT3_llli: ; @_ZL19rocblas_geam_deviceILi16ELi16EPKfS1_PfEv18rocblas_operation_S3_iiT1_T2_lllS4_S5_lllT3_llli
; %bb.0:
	s_load_dwordx4 s[24:27], s[4:5], 0x0
	v_and_b32_e32 v3, 0x3ff, v0
	v_bfe_u32 v0, v0, 10, 10
	s_waitcnt lgkmcnt(0)
	s_add_i32 s0, s26, -1
	s_ashr_i32 s1, s0, 31
	s_lshr_b32 s1, s1, 28
	s_add_i32 s0, s0, s1
	s_ashr_i32 s0, s0, 4
	s_add_i32 s1, s0, 1
	v_cvt_f32_u32_e32 v1, s1
	s_not_b32 s0, s0
	v_rcp_iflag_f32_e32 v1, v1
	v_mul_f32_e32 v1, 0x4f7ffffe, v1
	v_cvt_u32_f32_e32 v1, v1
	v_readfirstlane_b32 s2, v1
	s_mul_i32 s0, s0, s2
	s_mul_hi_u32 s0, s2, s0
	s_add_i32 s2, s2, s0
	s_mul_hi_u32 s0, s6, s2
	s_mul_i32 s2, s0, s1
	s_sub_i32 s2, s6, s2
	s_add_i32 s3, s0, 1
	s_sub_i32 s8, s2, s1
	s_cmp_ge_u32 s2, s1
	s_cselect_b32 s0, s3, s0
	s_cselect_b32 s2, s8, s2
	s_add_i32 s3, s0, 1
	s_cmp_ge_u32 s2, s1
	s_cselect_b32 s0, s3, s0
	s_mul_i32 s1, s0, s1
	v_lshl_add_u32 v2, s0, 4, v0
	s_sub_i32 s0, s6, s1
	v_lshl_add_u32 v0, s0, 4, v3
	v_cmp_gt_i32_e32 vcc, s26, v0
	v_cmp_gt_i32_e64 s[0:1], s27, v2
	s_and_b64 s[0:1], vcc, s[0:1]
	s_and_saveexec_b64 s[2:3], s[0:1]
	s_cbranch_execz .LBB8_6
; %bb.1:
	s_load_dwordx16 s[8:23], s[4:5], 0x10
	v_ashrrev_i32_e32 v1, 31, v0
	v_ashrrev_i32_e32 v3, 31, v2
	v_mov_b32_e32 v4, 0
	v_mov_b32_e32 v5, 0
	s_waitcnt lgkmcnt(0)
	s_load_dword s6, s[8:9], 0x0
	s_waitcnt lgkmcnt(0)
	v_cmp_eq_f32_e64 s[0:1], s6, 0
	s_load_dword s18, s[18:19], 0x0
	s_and_b64 vcc, exec, s[0:1]
	s_cbranch_vccnz .LBB8_3
; %bb.2:
	s_cmpk_eq_i32 s24, 0x6f
	s_cselect_b64 vcc, -1, 0
	v_cndmask_b32_e32 v5, v0, v2, vcc
	v_cndmask_b32_e32 v6, v1, v3, vcc
	v_mul_lo_u32 v8, v6, s14
	v_mad_u64_u32 v[6:7], s[0:1], v5, s14, 0
	s_mul_i32 s0, s7, s17
	s_mul_hi_u32 s1, s7, s16
	s_add_i32 s1, s1, s0
	s_mul_i32 s0, s7, s16
	s_lshl_b64 s[0:1], s[0:1], 2
	s_add_u32 s2, s10, s0
	v_mul_lo_u32 v9, v5, s15
	s_addc_u32 s3, s11, s1
	s_lshl_b64 s[0:1], s[12:13], 2
	v_add3_u32 v7, v7, v9, v8
	s_add_u32 s0, s2, s0
	s_addc_u32 s1, s3, s1
	v_lshlrev_b64 v[6:7], 2, v[6:7]
	v_cndmask_b32_e32 v9, v3, v1, vcc
	v_cndmask_b32_e32 v8, v2, v0, vcc
	v_mov_b32_e32 v5, s1
	v_add_co_u32_e32 v10, vcc, s0, v6
	v_addc_co_u32_e32 v5, vcc, v5, v7, vcc
	v_lshlrev_b64 v[6:7], 2, v[8:9]
	v_add_co_u32_e32 v6, vcc, v10, v6
	v_addc_co_u32_e32 v7, vcc, v5, v7, vcc
	global_load_dword v5, v[6:7], off
.LBB8_3:
	s_load_dwordx8 s[8:15], s[4:5], 0x50
	s_load_dwordx4 s[0:3], s[4:5], 0x70
	s_waitcnt lgkmcnt(0)
	v_cmp_eq_f32_e64 s[4:5], s18, 0
	s_and_b64 vcc, exec, s[4:5]
	s_cbranch_vccnz .LBB8_5
; %bb.4:
	s_mul_i32 s4, s7, s11
	s_mul_hi_u32 s5, s7, s10
	s_add_i32 s5, s5, s4
	s_mul_i32 s4, s7, s10
	s_lshl_b64 s[4:5], s[4:5], 2
	s_add_u32 s10, s20, s4
	s_addc_u32 s11, s21, s5
	s_lshl_b64 s[4:5], s[22:23], 2
	s_add_u32 s10, s10, s4
	s_addc_u32 s11, s11, s5
	s_cmpk_eq_i32 s25, 0x6f
	s_cselect_b64 vcc, -1, 0
	v_cndmask_b32_e32 v4, v0, v2, vcc
	v_cndmask_b32_e32 v8, v1, v3, vcc
	v_mul_lo_u32 v10, v8, s8
	v_mul_lo_u32 v11, v4, s9
	v_mad_u64_u32 v[8:9], s[4:5], v4, s8, 0
	v_add3_u32 v9, v9, v11, v10
	v_lshlrev_b64 v[8:9], 2, v[8:9]
	v_cndmask_b32_e32 v7, v3, v1, vcc
	v_cndmask_b32_e32 v6, v2, v0, vcc
	v_mov_b32_e32 v4, s11
	v_add_co_u32_e32 v8, vcc, s10, v8
	v_addc_co_u32_e32 v4, vcc, v4, v9, vcc
	v_lshlrev_b64 v[6:7], 2, v[6:7]
	v_add_co_u32_e32 v6, vcc, v8, v6
	v_addc_co_u32_e32 v7, vcc, v4, v7, vcc
	global_load_dword v4, v[6:7], off
.LBB8_5:
	s_mul_i32 s3, s7, s3
	s_mul_hi_u32 s4, s7, s2
	s_add_i32 s3, s4, s3
	s_mul_i32 s2, s7, s2
	s_lshl_b64 s[2:3], s[2:3], 2
	s_add_u32 s4, s12, s2
	s_addc_u32 s5, s13, s3
	s_lshl_b64 s[2:3], s[14:15], 2
	v_mul_lo_u32 v6, v3, s0
	v_mul_lo_u32 v7, v2, s1
	v_mad_u64_u32 v[2:3], s[0:1], v2, s0, 0
	s_add_u32 s2, s4, s2
	v_add3_u32 v3, v3, v7, v6
	s_addc_u32 s3, s5, s3
	s_waitcnt vmcnt(0)
	v_mul_f32_e32 v4, s18, v4
	v_lshlrev_b64 v[2:3], 2, v[2:3]
	v_fmac_f32_e32 v4, s6, v5
	v_mov_b32_e32 v5, s3
	v_add_co_u32_e32 v2, vcc, s2, v2
	v_addc_co_u32_e32 v3, vcc, v5, v3, vcc
	v_lshlrev_b64 v[0:1], 2, v[0:1]
	v_add_co_u32_e32 v0, vcc, v2, v0
	v_addc_co_u32_e32 v1, vcc, v3, v1, vcc
	global_store_dword v[0:1], v4, off
.LBB8_6:
	s_endpgm
	.section	.rodata,"a",@progbits
	.p2align	6, 0x0
	.amdhsa_kernel _ZL19rocblas_geam_deviceILi16ELi16EPKfS1_PfEv18rocblas_operation_S3_iiT1_T2_lllS4_S5_lllT3_llli
		.amdhsa_group_segment_fixed_size 0
		.amdhsa_private_segment_fixed_size 0
		.amdhsa_kernarg_size 132
		.amdhsa_user_sgpr_count 6
		.amdhsa_user_sgpr_private_segment_buffer 1
		.amdhsa_user_sgpr_dispatch_ptr 0
		.amdhsa_user_sgpr_queue_ptr 0
		.amdhsa_user_sgpr_kernarg_segment_ptr 1
		.amdhsa_user_sgpr_dispatch_id 0
		.amdhsa_user_sgpr_flat_scratch_init 0
		.amdhsa_user_sgpr_kernarg_preload_length 0
		.amdhsa_user_sgpr_kernarg_preload_offset 0
		.amdhsa_user_sgpr_private_segment_size 0
		.amdhsa_uses_dynamic_stack 0
		.amdhsa_system_sgpr_private_segment_wavefront_offset 0
		.amdhsa_system_sgpr_workgroup_id_x 1
		.amdhsa_system_sgpr_workgroup_id_y 0
		.amdhsa_system_sgpr_workgroup_id_z 1
		.amdhsa_system_sgpr_workgroup_info 0
		.amdhsa_system_vgpr_workitem_id 1
		.amdhsa_next_free_vgpr 12
		.amdhsa_next_free_sgpr 28
		.amdhsa_accum_offset 12
		.amdhsa_reserve_vcc 1
		.amdhsa_reserve_flat_scratch 0
		.amdhsa_float_round_mode_32 0
		.amdhsa_float_round_mode_16_64 0
		.amdhsa_float_denorm_mode_32 3
		.amdhsa_float_denorm_mode_16_64 3
		.amdhsa_dx10_clamp 1
		.amdhsa_ieee_mode 1
		.amdhsa_fp16_overflow 0
		.amdhsa_tg_split 0
		.amdhsa_exception_fp_ieee_invalid_op 0
		.amdhsa_exception_fp_denorm_src 0
		.amdhsa_exception_fp_ieee_div_zero 0
		.amdhsa_exception_fp_ieee_overflow 0
		.amdhsa_exception_fp_ieee_underflow 0
		.amdhsa_exception_fp_ieee_inexact 0
		.amdhsa_exception_int_div_zero 0
	.end_amdhsa_kernel
	.section	.text._ZL19rocblas_geam_deviceILi16ELi16EPKfS1_PfEv18rocblas_operation_S3_iiT1_T2_lllS4_S5_lllT3_llli,"axG",@progbits,_ZL19rocblas_geam_deviceILi16ELi16EPKfS1_PfEv18rocblas_operation_S3_iiT1_T2_lllS4_S5_lllT3_llli,comdat
.Lfunc_end8:
	.size	_ZL19rocblas_geam_deviceILi16ELi16EPKfS1_PfEv18rocblas_operation_S3_iiT1_T2_lllS4_S5_lllT3_llli, .Lfunc_end8-_ZL19rocblas_geam_deviceILi16ELi16EPKfS1_PfEv18rocblas_operation_S3_iiT1_T2_lllS4_S5_lllT3_llli
                                        ; -- End function
	.section	.AMDGPU.csdata,"",@progbits
; Kernel info:
; codeLenInByte = 696
; NumSgprs: 32
; NumVgprs: 12
; NumAgprs: 0
; TotalNumVgprs: 12
; ScratchSize: 0
; MemoryBound: 0
; FloatMode: 240
; IeeeMode: 1
; LDSByteSize: 0 bytes/workgroup (compile time only)
; SGPRBlocks: 3
; VGPRBlocks: 1
; NumSGPRsForWavesPerEU: 32
; NumVGPRsForWavesPerEU: 12
; AccumOffset: 12
; Occupancy: 8
; WaveLimiterHint : 0
; COMPUTE_PGM_RSRC2:SCRATCH_EN: 0
; COMPUTE_PGM_RSRC2:USER_SGPR: 6
; COMPUTE_PGM_RSRC2:TRAP_HANDLER: 0
; COMPUTE_PGM_RSRC2:TGID_X_EN: 1
; COMPUTE_PGM_RSRC2:TGID_Y_EN: 0
; COMPUTE_PGM_RSRC2:TGID_Z_EN: 1
; COMPUTE_PGM_RSRC2:TIDIG_COMP_CNT: 1
; COMPUTE_PGM_RSRC3_GFX90A:ACCUM_OFFSET: 2
; COMPUTE_PGM_RSRC3_GFX90A:TG_SPLIT: 0
	.section	.text._ZL31rocblas_geam_zero_matrix_deviceILi16ELi16EPdEviiT1_llli,"axG",@progbits,_ZL31rocblas_geam_zero_matrix_deviceILi16ELi16EPdEviiT1_llli,comdat
	.globl	_ZL31rocblas_geam_zero_matrix_deviceILi16ELi16EPdEviiT1_llli ; -- Begin function _ZL31rocblas_geam_zero_matrix_deviceILi16ELi16EPdEviiT1_llli
	.p2align	8
	.type	_ZL31rocblas_geam_zero_matrix_deviceILi16ELi16EPdEviiT1_llli,@function
_ZL31rocblas_geam_zero_matrix_deviceILi16ELi16EPdEviiT1_llli: ; @_ZL31rocblas_geam_zero_matrix_deviceILi16ELi16EPdEviiT1_llli
; %bb.0:
	s_load_dwordx2 s[0:1], s[4:5], 0x0
	v_and_b32_e32 v3, 0x3ff, v0
	v_bfe_u32 v0, v0, 10, 10
	s_waitcnt lgkmcnt(0)
	s_add_i32 s2, s0, -1
	s_ashr_i32 s3, s2, 31
	s_lshr_b32 s3, s3, 28
	s_add_i32 s2, s2, s3
	s_ashr_i32 s2, s2, 4
	s_add_i32 s3, s2, 1
	v_cvt_f32_u32_e32 v1, s3
	s_not_b32 s2, s2
	v_rcp_iflag_f32_e32 v1, v1
	v_mul_f32_e32 v1, 0x4f7ffffe, v1
	v_cvt_u32_f32_e32 v1, v1
	v_readfirstlane_b32 s8, v1
	s_mul_i32 s2, s2, s8
	s_mul_hi_u32 s2, s8, s2
	s_add_i32 s8, s8, s2
	s_mul_hi_u32 s2, s6, s8
	s_mul_i32 s8, s2, s3
	s_sub_i32 s8, s6, s8
	s_add_i32 s9, s2, 1
	s_sub_i32 s10, s8, s3
	s_cmp_ge_u32 s8, s3
	s_cselect_b32 s2, s9, s2
	s_cselect_b32 s8, s10, s8
	s_add_i32 s9, s2, 1
	s_cmp_ge_u32 s8, s3
	s_cselect_b32 s2, s9, s2
	s_mul_i32 s3, s2, s3
	v_lshl_add_u32 v2, s2, 4, v0
	s_sub_i32 s2, s6, s3
	v_lshl_add_u32 v0, s2, 4, v3
	v_cmp_gt_i32_e32 vcc, s0, v0
	v_cmp_gt_i32_e64 s[0:1], s1, v2
	s_and_b64 s[0:1], vcc, s[0:1]
	s_and_saveexec_b64 s[2:3], s[0:1]
	s_cbranch_execz .LBB9_2
; %bb.1:
	s_load_dwordx8 s[8:15], s[4:5], 0x8
	v_ashrrev_i32_e32 v3, 31, v2
	v_ashrrev_i32_e32 v1, 31, v0
	v_lshlrev_b64 v[0:1], 3, v[0:1]
	s_waitcnt lgkmcnt(0)
	s_mul_i32 s1, s7, s15
	s_mul_hi_u32 s2, s7, s14
	s_mul_i32 s0, s7, s14
	s_add_i32 s1, s2, s1
	s_lshl_b64 s[0:1], s[0:1], 3
	s_add_u32 s2, s8, s0
	s_addc_u32 s3, s9, s1
	s_lshl_b64 s[0:1], s[10:11], 3
	s_add_u32 s2, s2, s0
	s_addc_u32 s3, s3, s1
	v_mul_lo_u32 v4, v2, s13
	v_mul_lo_u32 v5, v3, s12
	v_mad_u64_u32 v[2:3], s[0:1], v2, s12, 0
	v_add3_u32 v3, v3, v4, v5
	v_lshlrev_b64 v[2:3], 3, v[2:3]
	v_mov_b32_e32 v4, s3
	v_add_co_u32_e32 v2, vcc, s2, v2
	v_addc_co_u32_e32 v3, vcc, v4, v3, vcc
	v_add_co_u32_e32 v0, vcc, v2, v0
	v_mov_b32_e32 v2, 0
	v_addc_co_u32_e32 v1, vcc, v3, v1, vcc
	v_mov_b32_e32 v3, v2
	global_store_dwordx2 v[0:1], v[2:3], off
.LBB9_2:
	s_endpgm
	.section	.rodata,"a",@progbits
	.p2align	6, 0x0
	.amdhsa_kernel _ZL31rocblas_geam_zero_matrix_deviceILi16ELi16EPdEviiT1_llli
		.amdhsa_group_segment_fixed_size 0
		.amdhsa_private_segment_fixed_size 0
		.amdhsa_kernarg_size 44
		.amdhsa_user_sgpr_count 6
		.amdhsa_user_sgpr_private_segment_buffer 1
		.amdhsa_user_sgpr_dispatch_ptr 0
		.amdhsa_user_sgpr_queue_ptr 0
		.amdhsa_user_sgpr_kernarg_segment_ptr 1
		.amdhsa_user_sgpr_dispatch_id 0
		.amdhsa_user_sgpr_flat_scratch_init 0
		.amdhsa_user_sgpr_kernarg_preload_length 0
		.amdhsa_user_sgpr_kernarg_preload_offset 0
		.amdhsa_user_sgpr_private_segment_size 0
		.amdhsa_uses_dynamic_stack 0
		.amdhsa_system_sgpr_private_segment_wavefront_offset 0
		.amdhsa_system_sgpr_workgroup_id_x 1
		.amdhsa_system_sgpr_workgroup_id_y 0
		.amdhsa_system_sgpr_workgroup_id_z 1
		.amdhsa_system_sgpr_workgroup_info 0
		.amdhsa_system_vgpr_workitem_id 1
		.amdhsa_next_free_vgpr 6
		.amdhsa_next_free_sgpr 16
		.amdhsa_accum_offset 8
		.amdhsa_reserve_vcc 1
		.amdhsa_reserve_flat_scratch 0
		.amdhsa_float_round_mode_32 0
		.amdhsa_float_round_mode_16_64 0
		.amdhsa_float_denorm_mode_32 3
		.amdhsa_float_denorm_mode_16_64 3
		.amdhsa_dx10_clamp 1
		.amdhsa_ieee_mode 1
		.amdhsa_fp16_overflow 0
		.amdhsa_tg_split 0
		.amdhsa_exception_fp_ieee_invalid_op 0
		.amdhsa_exception_fp_denorm_src 0
		.amdhsa_exception_fp_ieee_div_zero 0
		.amdhsa_exception_fp_ieee_overflow 0
		.amdhsa_exception_fp_ieee_underflow 0
		.amdhsa_exception_fp_ieee_inexact 0
		.amdhsa_exception_int_div_zero 0
	.end_amdhsa_kernel
	.section	.text._ZL31rocblas_geam_zero_matrix_deviceILi16ELi16EPdEviiT1_llli,"axG",@progbits,_ZL31rocblas_geam_zero_matrix_deviceILi16ELi16EPdEviiT1_llli,comdat
.Lfunc_end9:
	.size	_ZL31rocblas_geam_zero_matrix_deviceILi16ELi16EPdEviiT1_llli, .Lfunc_end9-_ZL31rocblas_geam_zero_matrix_deviceILi16ELi16EPdEviiT1_llli
                                        ; -- End function
	.section	.AMDGPU.csdata,"",@progbits
; Kernel info:
; codeLenInByte = 332
; NumSgprs: 20
; NumVgprs: 6
; NumAgprs: 0
; TotalNumVgprs: 6
; ScratchSize: 0
; MemoryBound: 0
; FloatMode: 240
; IeeeMode: 1
; LDSByteSize: 0 bytes/workgroup (compile time only)
; SGPRBlocks: 2
; VGPRBlocks: 0
; NumSGPRsForWavesPerEU: 20
; NumVGPRsForWavesPerEU: 6
; AccumOffset: 8
; Occupancy: 8
; WaveLimiterHint : 0
; COMPUTE_PGM_RSRC2:SCRATCH_EN: 0
; COMPUTE_PGM_RSRC2:USER_SGPR: 6
; COMPUTE_PGM_RSRC2:TRAP_HANDLER: 0
; COMPUTE_PGM_RSRC2:TGID_X_EN: 1
; COMPUTE_PGM_RSRC2:TGID_Y_EN: 0
; COMPUTE_PGM_RSRC2:TGID_Z_EN: 1
; COMPUTE_PGM_RSRC2:TIDIG_COMP_CNT: 1
; COMPUTE_PGM_RSRC3_GFX90A:ACCUM_OFFSET: 1
; COMPUTE_PGM_RSRC3_GFX90A:TG_SPLIT: 0
	.section	.text._ZL27rocblas_geam_inplace_deviceILi16ELi16EdPKdPdEv18rocblas_operation_iiT1_S4_T2_lllT3_llli,"axG",@progbits,_ZL27rocblas_geam_inplace_deviceILi16ELi16EdPKdPdEv18rocblas_operation_iiT1_S4_T2_lllT3_llli,comdat
	.globl	_ZL27rocblas_geam_inplace_deviceILi16ELi16EdPKdPdEv18rocblas_operation_iiT1_S4_T2_lllT3_llli ; -- Begin function _ZL27rocblas_geam_inplace_deviceILi16ELi16EdPKdPdEv18rocblas_operation_iiT1_S4_T2_lllT3_llli
	.p2align	8
	.type	_ZL27rocblas_geam_inplace_deviceILi16ELi16EdPKdPdEv18rocblas_operation_iiT1_S4_T2_lllT3_llli,@function
_ZL27rocblas_geam_inplace_deviceILi16ELi16EdPKdPdEv18rocblas_operation_iiT1_S4_T2_lllT3_llli: ; @_ZL27rocblas_geam_inplace_deviceILi16ELi16EdPKdPdEv18rocblas_operation_iiT1_S4_T2_lllT3_llli
; %bb.0:
	s_load_dwordx4 s[24:27], s[4:5], 0x0
	v_and_b32_e32 v3, 0x3ff, v0
	v_bfe_u32 v0, v0, 10, 10
	s_waitcnt lgkmcnt(0)
	s_add_i32 s0, s25, -1
	s_ashr_i32 s1, s0, 31
	s_lshr_b32 s1, s1, 28
	s_add_i32 s0, s0, s1
	s_ashr_i32 s0, s0, 4
	s_add_i32 s1, s0, 1
	v_cvt_f32_u32_e32 v1, s1
	s_not_b32 s0, s0
	v_rcp_iflag_f32_e32 v1, v1
	v_mul_f32_e32 v1, 0x4f7ffffe, v1
	v_cvt_u32_f32_e32 v1, v1
	v_readfirstlane_b32 s2, v1
	s_mul_i32 s0, s0, s2
	s_mul_hi_u32 s0, s2, s0
	s_add_i32 s2, s2, s0
	s_mul_hi_u32 s0, s6, s2
	s_mul_i32 s2, s0, s1
	s_sub_i32 s2, s6, s2
	s_add_i32 s3, s0, 1
	s_sub_i32 s8, s2, s1
	s_cmp_ge_u32 s2, s1
	s_cselect_b32 s0, s3, s0
	s_cselect_b32 s2, s8, s2
	s_add_i32 s3, s0, 1
	s_cmp_ge_u32 s2, s1
	s_cselect_b32 s0, s3, s0
	s_mul_i32 s1, s0, s1
	v_lshl_add_u32 v2, s0, 4, v0
	s_sub_i32 s0, s6, s1
	v_lshl_add_u32 v4, s0, 4, v3
	v_cmp_gt_i32_e32 vcc, s25, v4
	v_cmp_gt_i32_e64 s[0:1], s26, v2
	s_and_b64 s[0:1], vcc, s[0:1]
	s_and_saveexec_b64 s[2:3], s[0:1]
	s_cbranch_execz .LBB10_6
; %bb.1:
	s_load_dwordx4 s[0:3], s[4:5], 0x50
	s_load_dwordx16 s[8:23], s[4:5], 0x10
	v_ashrrev_i32_e32 v5, 31, v4
	v_ashrrev_i32_e32 v3, 31, v2
	s_waitcnt lgkmcnt(0)
	s_mul_i32 s3, s7, s3
	s_mul_hi_u32 s4, s7, s2
	s_mul_i32 s2, s7, s2
	s_add_i32 s3, s4, s3
	s_lshl_b64 s[2:3], s[2:3], 3
	s_add_u32 s4, s20, s2
	s_addc_u32 s5, s21, s3
	s_lshl_b64 s[2:3], s[22:23], 3
	v_mul_lo_u32 v6, v2, s1
	v_mul_lo_u32 v7, v3, s0
	v_mad_u64_u32 v[0:1], s[0:1], v2, s0, v[4:5]
	s_add_u32 s2, s4, s2
	v_add3_u32 v1, v7, v1, v6
	v_cmp_neq_f64_e64 s[0:1], s[10:11], 0
	s_addc_u32 s3, s5, s3
	s_and_b64 vcc, exec, s[0:1]
	v_lshlrev_b64 v[0:1], 3, v[0:1]
	s_cbranch_vccz .LBB10_7
; %bb.2:
	s_mul_i32 s0, s7, s19
	s_mul_hi_u32 s1, s7, s18
	s_add_i32 s1, s1, s0
	s_mul_i32 s0, s7, s18
	s_lshl_b64 s[0:1], s[0:1], 3
	s_add_u32 s4, s12, s0
	s_addc_u32 s5, s13, s1
	s_lshl_b64 s[0:1], s[14:15], 3
	s_add_u32 s4, s4, s0
	s_addc_u32 s5, s5, s1
	s_cmpk_eq_i32 s24, 0x6f
	s_cselect_b64 vcc, -1, 0
	v_cndmask_b32_e32 v6, v4, v2, vcc
	v_cndmask_b32_e32 v7, v5, v3, vcc
	;; [unrolled: 1-line block ×4, first 2 shown]
	v_mul_lo_u32 v7, v7, s16
	v_mul_lo_u32 v8, v6, s17
	v_mad_u64_u32 v[4:5], s[0:1], v6, s16, 0
	v_add3_u32 v5, v5, v8, v7
	v_lshlrev_b64 v[4:5], 3, v[4:5]
	v_mov_b32_e32 v6, s5
	v_add_co_u32_e32 v4, vcc, s4, v4
	v_addc_co_u32_e32 v5, vcc, v6, v5, vcc
	v_lshlrev_b64 v[2:3], 3, v[2:3]
	v_add_co_u32_e32 v2, vcc, v4, v2
	v_addc_co_u32_e32 v3, vcc, v5, v3, vcc
	global_load_dwordx2 v[4:5], v[2:3], off
	v_mov_b32_e32 v3, s3
	v_add_co_u32_e32 v2, vcc, s2, v0
	v_cmp_neq_f64_e64 s[4:5], s[8:9], 0
	v_addc_co_u32_e32 v3, vcc, v3, v1, vcc
	s_mov_b64 s[0:1], 0
	s_and_b64 vcc, exec, s[4:5]
	s_waitcnt vmcnt(0)
	v_mul_f64 v[4:5], v[4:5], s[10:11]
	s_cbranch_vccz .LBB10_11
; %bb.3:
	global_load_dwordx2 v[6:7], v[2:3], off
	s_waitcnt vmcnt(0)
	v_fma_f64 v[6:7], s[8:9], v[6:7], v[4:5]
	global_store_dwordx2 v[2:3], v[6:7], off
	s_andn2_b64 vcc, exec, s[0:1]
	s_cbranch_vccnz .LBB10_5
.LBB10_4:
	global_store_dwordx2 v[2:3], v[4:5], off
.LBB10_5:
	s_cbranch_execz .LBB10_8
.LBB10_6:
	s_endpgm
.LBB10_7:
.LBB10_8:
	v_cmp_eq_f64_e64 s[0:1], s[8:9], 0
	v_pk_mov_b32 v[2:3], 0, 0
	s_and_b64 vcc, exec, s[0:1]
	s_cbranch_vccnz .LBB10_10
; %bb.9:
	v_mov_b32_e32 v3, s3
	v_add_co_u32_e32 v2, vcc, s2, v0
	v_addc_co_u32_e32 v3, vcc, v3, v1, vcc
	global_load_dwordx2 v[2:3], v[2:3], off
	s_waitcnt vmcnt(0)
	v_mul_f64 v[2:3], v[2:3], s[8:9]
.LBB10_10:
	v_mov_b32_e32 v4, s3
	v_add_co_u32_e32 v0, vcc, s2, v0
	v_addc_co_u32_e32 v1, vcc, v4, v1, vcc
	global_store_dwordx2 v[0:1], v[2:3], off
	s_endpgm
.LBB10_11:
	s_branch .LBB10_4
	.section	.rodata,"a",@progbits
	.p2align	6, 0x0
	.amdhsa_kernel _ZL27rocblas_geam_inplace_deviceILi16ELi16EdPKdPdEv18rocblas_operation_iiT1_S4_T2_lllT3_llli
		.amdhsa_group_segment_fixed_size 0
		.amdhsa_private_segment_fixed_size 0
		.amdhsa_kernarg_size 100
		.amdhsa_user_sgpr_count 6
		.amdhsa_user_sgpr_private_segment_buffer 1
		.amdhsa_user_sgpr_dispatch_ptr 0
		.amdhsa_user_sgpr_queue_ptr 0
		.amdhsa_user_sgpr_kernarg_segment_ptr 1
		.amdhsa_user_sgpr_dispatch_id 0
		.amdhsa_user_sgpr_flat_scratch_init 0
		.amdhsa_user_sgpr_kernarg_preload_length 0
		.amdhsa_user_sgpr_kernarg_preload_offset 0
		.amdhsa_user_sgpr_private_segment_size 0
		.amdhsa_uses_dynamic_stack 0
		.amdhsa_system_sgpr_private_segment_wavefront_offset 0
		.amdhsa_system_sgpr_workgroup_id_x 1
		.amdhsa_system_sgpr_workgroup_id_y 0
		.amdhsa_system_sgpr_workgroup_id_z 1
		.amdhsa_system_sgpr_workgroup_info 0
		.amdhsa_system_vgpr_workitem_id 1
		.amdhsa_next_free_vgpr 9
		.amdhsa_next_free_sgpr 28
		.amdhsa_accum_offset 12
		.amdhsa_reserve_vcc 1
		.amdhsa_reserve_flat_scratch 0
		.amdhsa_float_round_mode_32 0
		.amdhsa_float_round_mode_16_64 0
		.amdhsa_float_denorm_mode_32 3
		.amdhsa_float_denorm_mode_16_64 3
		.amdhsa_dx10_clamp 1
		.amdhsa_ieee_mode 1
		.amdhsa_fp16_overflow 0
		.amdhsa_tg_split 0
		.amdhsa_exception_fp_ieee_invalid_op 0
		.amdhsa_exception_fp_denorm_src 0
		.amdhsa_exception_fp_ieee_div_zero 0
		.amdhsa_exception_fp_ieee_overflow 0
		.amdhsa_exception_fp_ieee_underflow 0
		.amdhsa_exception_fp_ieee_inexact 0
		.amdhsa_exception_int_div_zero 0
	.end_amdhsa_kernel
	.section	.text._ZL27rocblas_geam_inplace_deviceILi16ELi16EdPKdPdEv18rocblas_operation_iiT1_S4_T2_lllT3_llli,"axG",@progbits,_ZL27rocblas_geam_inplace_deviceILi16ELi16EdPKdPdEv18rocblas_operation_iiT1_S4_T2_lllT3_llli,comdat
.Lfunc_end10:
	.size	_ZL27rocblas_geam_inplace_deviceILi16ELi16EdPKdPdEv18rocblas_operation_iiT1_S4_T2_lllT3_llli, .Lfunc_end10-_ZL27rocblas_geam_inplace_deviceILi16ELi16EdPKdPdEv18rocblas_operation_iiT1_S4_T2_lllT3_llli
                                        ; -- End function
	.section	.AMDGPU.csdata,"",@progbits
; Kernel info:
; codeLenInByte = 628
; NumSgprs: 32
; NumVgprs: 9
; NumAgprs: 0
; TotalNumVgprs: 9
; ScratchSize: 0
; MemoryBound: 0
; FloatMode: 240
; IeeeMode: 1
; LDSByteSize: 0 bytes/workgroup (compile time only)
; SGPRBlocks: 3
; VGPRBlocks: 1
; NumSGPRsForWavesPerEU: 32
; NumVGPRsForWavesPerEU: 9
; AccumOffset: 12
; Occupancy: 8
; WaveLimiterHint : 0
; COMPUTE_PGM_RSRC2:SCRATCH_EN: 0
; COMPUTE_PGM_RSRC2:USER_SGPR: 6
; COMPUTE_PGM_RSRC2:TRAP_HANDLER: 0
; COMPUTE_PGM_RSRC2:TGID_X_EN: 1
; COMPUTE_PGM_RSRC2:TGID_Y_EN: 0
; COMPUTE_PGM_RSRC2:TGID_Z_EN: 1
; COMPUTE_PGM_RSRC2:TIDIG_COMP_CNT: 1
; COMPUTE_PGM_RSRC3_GFX90A:ACCUM_OFFSET: 2
; COMPUTE_PGM_RSRC3_GFX90A:TG_SPLIT: 0
	.section	.text._ZL27rocblas_geam_inplace_deviceILi16ELi16EPKdS1_PdEv18rocblas_operation_iiT1_S4_T2_lllT3_llli,"axG",@progbits,_ZL27rocblas_geam_inplace_deviceILi16ELi16EPKdS1_PdEv18rocblas_operation_iiT1_S4_T2_lllT3_llli,comdat
	.globl	_ZL27rocblas_geam_inplace_deviceILi16ELi16EPKdS1_PdEv18rocblas_operation_iiT1_S4_T2_lllT3_llli ; -- Begin function _ZL27rocblas_geam_inplace_deviceILi16ELi16EPKdS1_PdEv18rocblas_operation_iiT1_S4_T2_lllT3_llli
	.p2align	8
	.type	_ZL27rocblas_geam_inplace_deviceILi16ELi16EPKdS1_PdEv18rocblas_operation_iiT1_S4_T2_lllT3_llli,@function
_ZL27rocblas_geam_inplace_deviceILi16ELi16EPKdS1_PdEv18rocblas_operation_iiT1_S4_T2_lllT3_llli: ; @_ZL27rocblas_geam_inplace_deviceILi16ELi16EPKdS1_PdEv18rocblas_operation_iiT1_S4_T2_lllT3_llli
; %bb.0:
	s_load_dwordx4 s[24:27], s[4:5], 0x0
	v_and_b32_e32 v3, 0x3ff, v0
	v_bfe_u32 v0, v0, 10, 10
	s_waitcnt lgkmcnt(0)
	s_add_i32 s0, s25, -1
	s_ashr_i32 s1, s0, 31
	s_lshr_b32 s1, s1, 28
	s_add_i32 s0, s0, s1
	s_ashr_i32 s0, s0, 4
	s_add_i32 s1, s0, 1
	v_cvt_f32_u32_e32 v1, s1
	s_not_b32 s0, s0
	v_rcp_iflag_f32_e32 v1, v1
	v_mul_f32_e32 v1, 0x4f7ffffe, v1
	v_cvt_u32_f32_e32 v1, v1
	v_readfirstlane_b32 s2, v1
	s_mul_i32 s0, s0, s2
	s_mul_hi_u32 s0, s2, s0
	s_add_i32 s2, s2, s0
	s_mul_hi_u32 s0, s6, s2
	s_mul_i32 s2, s0, s1
	s_sub_i32 s2, s6, s2
	s_add_i32 s3, s0, 1
	s_sub_i32 s8, s2, s1
	s_cmp_ge_u32 s2, s1
	s_cselect_b32 s0, s3, s0
	s_cselect_b32 s2, s8, s2
	s_add_i32 s3, s0, 1
	s_cmp_ge_u32 s2, s1
	s_cselect_b32 s0, s3, s0
	s_mul_i32 s1, s0, s1
	v_lshl_add_u32 v2, s0, 4, v0
	s_sub_i32 s0, s6, s1
	v_lshl_add_u32 v4, s0, 4, v3
	v_cmp_gt_i32_e32 vcc, s25, v4
	v_cmp_gt_i32_e64 s[0:1], s26, v2
	s_and_b64 s[0:1], vcc, s[0:1]
	s_and_saveexec_b64 s[2:3], s[0:1]
	s_cbranch_execz .LBB11_6
; %bb.1:
	s_load_dwordx16 s[8:23], s[4:5], 0x10
	s_load_dwordx4 s[28:31], s[4:5], 0x50
	v_ashrrev_i32_e32 v5, 31, v4
	v_ashrrev_i32_e32 v3, 31, v2
	s_waitcnt lgkmcnt(0)
	s_load_dwordx2 s[0:1], s[8:9], 0x0
	s_load_dwordx2 s[2:3], s[10:11], 0x0
	s_mul_i32 s4, s7, s31
	s_mul_hi_u32 s5, s7, s30
	s_add_i32 s5, s5, s4
	s_mul_i32 s4, s7, s30
	s_lshl_b64 s[4:5], s[4:5], 3
	s_add_u32 s6, s20, s4
	s_addc_u32 s8, s21, s5
	s_lshl_b64 s[4:5], s[22:23], 3
	s_add_u32 s6, s6, s4
	s_addc_u32 s8, s8, s5
	v_mul_lo_u32 v6, v2, s29
	v_mul_lo_u32 v7, v3, s28
	v_mad_u64_u32 v[0:1], s[4:5], v2, s28, v[4:5]
	v_add3_u32 v1, v7, v1, v6
	s_waitcnt lgkmcnt(0)
	v_cmp_neq_f64_e64 s[4:5], s[2:3], 0
	s_and_b64 vcc, exec, s[4:5]
	v_lshlrev_b64 v[0:1], 3, v[0:1]
	s_cbranch_vccz .LBB11_7
; %bb.2:
	s_mul_i32 s4, s7, s19
	s_mul_hi_u32 s5, s7, s18
	s_add_i32 s5, s5, s4
	s_mul_i32 s4, s7, s18
	s_lshl_b64 s[4:5], s[4:5], 3
	s_add_u32 s7, s12, s4
	s_addc_u32 s9, s13, s5
	s_lshl_b64 s[4:5], s[14:15], 3
	s_add_u32 s7, s7, s4
	s_addc_u32 s9, s9, s5
	s_cmpk_eq_i32 s24, 0x6f
	s_cselect_b64 vcc, -1, 0
	v_cndmask_b32_e32 v6, v4, v2, vcc
	v_cndmask_b32_e32 v7, v5, v3, vcc
	;; [unrolled: 1-line block ×4, first 2 shown]
	v_mul_lo_u32 v7, v7, s16
	v_mul_lo_u32 v8, v6, s17
	v_mad_u64_u32 v[4:5], s[4:5], v6, s16, 0
	v_add3_u32 v5, v5, v8, v7
	v_lshlrev_b64 v[4:5], 3, v[4:5]
	v_mov_b32_e32 v6, s9
	v_add_co_u32_e32 v4, vcc, s7, v4
	v_addc_co_u32_e32 v5, vcc, v6, v5, vcc
	v_lshlrev_b64 v[2:3], 3, v[2:3]
	v_add_co_u32_e32 v2, vcc, v4, v2
	v_addc_co_u32_e32 v3, vcc, v5, v3, vcc
	global_load_dwordx2 v[4:5], v[2:3], off
	v_mov_b32_e32 v3, s8
	v_add_co_u32_e32 v2, vcc, s6, v0
	v_cmp_neq_f64_e64 s[10:11], s[0:1], 0
	v_addc_co_u32_e32 v3, vcc, v3, v1, vcc
	s_mov_b64 s[4:5], 0
	s_and_b64 vcc, exec, s[10:11]
	s_waitcnt vmcnt(0)
	v_mul_f64 v[4:5], s[2:3], v[4:5]
	s_cbranch_vccz .LBB11_11
; %bb.3:
	global_load_dwordx2 v[6:7], v[2:3], off
	s_waitcnt vmcnt(0)
	v_fma_f64 v[6:7], s[0:1], v[6:7], v[4:5]
	global_store_dwordx2 v[2:3], v[6:7], off
	s_andn2_b64 vcc, exec, s[4:5]
	s_cbranch_vccnz .LBB11_5
.LBB11_4:
	global_store_dwordx2 v[2:3], v[4:5], off
.LBB11_5:
	s_cbranch_execz .LBB11_8
.LBB11_6:
	s_endpgm
.LBB11_7:
.LBB11_8:
	v_cmp_eq_f64_e64 s[2:3], s[0:1], 0
	v_pk_mov_b32 v[2:3], 0, 0
	s_and_b64 vcc, exec, s[2:3]
	s_cbranch_vccnz .LBB11_10
; %bb.9:
	v_mov_b32_e32 v3, s8
	v_add_co_u32_e32 v2, vcc, s6, v0
	v_addc_co_u32_e32 v3, vcc, v3, v1, vcc
	global_load_dwordx2 v[2:3], v[2:3], off
	s_waitcnt vmcnt(0)
	v_mul_f64 v[2:3], s[0:1], v[2:3]
.LBB11_10:
	v_mov_b32_e32 v4, s8
	v_add_co_u32_e32 v0, vcc, s6, v0
	v_addc_co_u32_e32 v1, vcc, v4, v1, vcc
	global_store_dwordx2 v[0:1], v[2:3], off
	s_endpgm
.LBB11_11:
	s_branch .LBB11_4
	.section	.rodata,"a",@progbits
	.p2align	6, 0x0
	.amdhsa_kernel _ZL27rocblas_geam_inplace_deviceILi16ELi16EPKdS1_PdEv18rocblas_operation_iiT1_S4_T2_lllT3_llli
		.amdhsa_group_segment_fixed_size 0
		.amdhsa_private_segment_fixed_size 0
		.amdhsa_kernarg_size 100
		.amdhsa_user_sgpr_count 6
		.amdhsa_user_sgpr_private_segment_buffer 1
		.amdhsa_user_sgpr_dispatch_ptr 0
		.amdhsa_user_sgpr_queue_ptr 0
		.amdhsa_user_sgpr_kernarg_segment_ptr 1
		.amdhsa_user_sgpr_dispatch_id 0
		.amdhsa_user_sgpr_flat_scratch_init 0
		.amdhsa_user_sgpr_kernarg_preload_length 0
		.amdhsa_user_sgpr_kernarg_preload_offset 0
		.amdhsa_user_sgpr_private_segment_size 0
		.amdhsa_uses_dynamic_stack 0
		.amdhsa_system_sgpr_private_segment_wavefront_offset 0
		.amdhsa_system_sgpr_workgroup_id_x 1
		.amdhsa_system_sgpr_workgroup_id_y 0
		.amdhsa_system_sgpr_workgroup_id_z 1
		.amdhsa_system_sgpr_workgroup_info 0
		.amdhsa_system_vgpr_workitem_id 1
		.amdhsa_next_free_vgpr 9
		.amdhsa_next_free_sgpr 32
		.amdhsa_accum_offset 12
		.amdhsa_reserve_vcc 1
		.amdhsa_reserve_flat_scratch 0
		.amdhsa_float_round_mode_32 0
		.amdhsa_float_round_mode_16_64 0
		.amdhsa_float_denorm_mode_32 3
		.amdhsa_float_denorm_mode_16_64 3
		.amdhsa_dx10_clamp 1
		.amdhsa_ieee_mode 1
		.amdhsa_fp16_overflow 0
		.amdhsa_tg_split 0
		.amdhsa_exception_fp_ieee_invalid_op 0
		.amdhsa_exception_fp_denorm_src 0
		.amdhsa_exception_fp_ieee_div_zero 0
		.amdhsa_exception_fp_ieee_overflow 0
		.amdhsa_exception_fp_ieee_underflow 0
		.amdhsa_exception_fp_ieee_inexact 0
		.amdhsa_exception_int_div_zero 0
	.end_amdhsa_kernel
	.section	.text._ZL27rocblas_geam_inplace_deviceILi16ELi16EPKdS1_PdEv18rocblas_operation_iiT1_S4_T2_lllT3_llli,"axG",@progbits,_ZL27rocblas_geam_inplace_deviceILi16ELi16EPKdS1_PdEv18rocblas_operation_iiT1_S4_T2_lllT3_llli,comdat
.Lfunc_end11:
	.size	_ZL27rocblas_geam_inplace_deviceILi16ELi16EPKdS1_PdEv18rocblas_operation_iiT1_S4_T2_lllT3_llli, .Lfunc_end11-_ZL27rocblas_geam_inplace_deviceILi16ELi16EPKdS1_PdEv18rocblas_operation_iiT1_S4_T2_lllT3_llli
                                        ; -- End function
	.section	.AMDGPU.csdata,"",@progbits
; Kernel info:
; codeLenInByte = 648
; NumSgprs: 36
; NumVgprs: 9
; NumAgprs: 0
; TotalNumVgprs: 9
; ScratchSize: 0
; MemoryBound: 0
; FloatMode: 240
; IeeeMode: 1
; LDSByteSize: 0 bytes/workgroup (compile time only)
; SGPRBlocks: 4
; VGPRBlocks: 1
; NumSGPRsForWavesPerEU: 36
; NumVGPRsForWavesPerEU: 9
; AccumOffset: 12
; Occupancy: 8
; WaveLimiterHint : 0
; COMPUTE_PGM_RSRC2:SCRATCH_EN: 0
; COMPUTE_PGM_RSRC2:USER_SGPR: 6
; COMPUTE_PGM_RSRC2:TRAP_HANDLER: 0
; COMPUTE_PGM_RSRC2:TGID_X_EN: 1
; COMPUTE_PGM_RSRC2:TGID_Y_EN: 0
; COMPUTE_PGM_RSRC2:TGID_Z_EN: 1
; COMPUTE_PGM_RSRC2:TIDIG_COMP_CNT: 1
; COMPUTE_PGM_RSRC3_GFX90A:ACCUM_OFFSET: 2
; COMPUTE_PGM_RSRC3_GFX90A:TG_SPLIT: 0
	.section	.text._ZL30rocblas_geam_1D_2matrix_deviceILi256EdPKdPdEvmT0_T1_llT2_lli,"axG",@progbits,_ZL30rocblas_geam_1D_2matrix_deviceILi256EdPKdPdEvmT0_T1_llT2_lli,comdat
	.globl	_ZL30rocblas_geam_1D_2matrix_deviceILi256EdPKdPdEvmT0_T1_llT2_lli ; -- Begin function _ZL30rocblas_geam_1D_2matrix_deviceILi256EdPKdPdEvmT0_T1_llT2_lli
	.p2align	8
	.type	_ZL30rocblas_geam_1D_2matrix_deviceILi256EdPKdPdEvmT0_T1_llT2_lli,@function
_ZL30rocblas_geam_1D_2matrix_deviceILi256EdPKdPdEvmT0_T1_llT2_lli: ; @_ZL30rocblas_geam_1D_2matrix_deviceILi256EdPKdPdEvmT0_T1_llT2_lli
; %bb.0:
	s_load_dword s0, s[4:5], 0x54
	s_load_dwordx16 s[8:23], s[4:5], 0x0
	v_mov_b32_e32 v1, 0
	v_mov_b32_e32 v2, s6
	s_waitcnt lgkmcnt(0)
	s_and_b32 s0, s0, 0xffff
	v_mad_u64_u32 v[0:1], s[0:1], s0, v2, v[0:1]
	v_cmp_gt_u64_e32 vcc, s[8:9], v[0:1]
	s_and_saveexec_b64 s[0:1], vcc
	s_cbranch_execz .LBB12_4
; %bb.1:
	v_cmp_eq_f64_e64 s[0:1], s[10:11], 0
	v_pk_mov_b32 v[2:3], 0, 0
	s_and_b64 vcc, exec, s[0:1]
	v_lshlrev_b64 v[0:1], 3, v[0:1]
	s_cbranch_vccnz .LBB12_3
; %bb.2:
	s_mul_i32 s0, s7, s17
	s_mul_hi_u32 s1, s7, s16
	s_add_i32 s1, s1, s0
	s_mul_i32 s0, s7, s16
	s_lshl_b64 s[0:1], s[0:1], 3
	s_add_u32 s2, s12, s0
	s_addc_u32 s3, s13, s1
	s_lshl_b64 s[0:1], s[14:15], 3
	s_add_u32 s0, s2, s0
	s_addc_u32 s1, s3, s1
	v_mov_b32_e32 v3, s1
	v_add_co_u32_e32 v2, vcc, s0, v0
	v_addc_co_u32_e32 v3, vcc, v3, v1, vcc
	global_load_dwordx2 v[2:3], v[2:3], off
	s_waitcnt vmcnt(0)
	v_mul_f64 v[2:3], v[2:3], s[10:11]
.LBB12_3:
	s_mul_i32 s0, s7, s23
	s_mul_hi_u32 s1, s7, s22
	s_add_i32 s1, s1, s0
	s_mul_i32 s0, s7, s22
	s_lshl_b64 s[0:1], s[0:1], 3
	s_add_u32 s2, s18, s0
	s_addc_u32 s3, s19, s1
	s_lshl_b64 s[0:1], s[20:21], 3
	s_add_u32 s0, s2, s0
	s_addc_u32 s1, s3, s1
	v_mov_b32_e32 v4, s1
	v_add_co_u32_e32 v0, vcc, s0, v0
	v_addc_co_u32_e32 v1, vcc, v4, v1, vcc
	global_store_dwordx2 v[0:1], v[2:3], off
.LBB12_4:
	s_endpgm
	.section	.rodata,"a",@progbits
	.p2align	6, 0x0
	.amdhsa_kernel _ZL30rocblas_geam_1D_2matrix_deviceILi256EdPKdPdEvmT0_T1_llT2_lli
		.amdhsa_group_segment_fixed_size 0
		.amdhsa_private_segment_fixed_size 0
		.amdhsa_kernarg_size 328
		.amdhsa_user_sgpr_count 6
		.amdhsa_user_sgpr_private_segment_buffer 1
		.amdhsa_user_sgpr_dispatch_ptr 0
		.amdhsa_user_sgpr_queue_ptr 0
		.amdhsa_user_sgpr_kernarg_segment_ptr 1
		.amdhsa_user_sgpr_dispatch_id 0
		.amdhsa_user_sgpr_flat_scratch_init 0
		.amdhsa_user_sgpr_kernarg_preload_length 0
		.amdhsa_user_sgpr_kernarg_preload_offset 0
		.amdhsa_user_sgpr_private_segment_size 0
		.amdhsa_uses_dynamic_stack 0
		.amdhsa_system_sgpr_private_segment_wavefront_offset 0
		.amdhsa_system_sgpr_workgroup_id_x 1
		.amdhsa_system_sgpr_workgroup_id_y 0
		.amdhsa_system_sgpr_workgroup_id_z 1
		.amdhsa_system_sgpr_workgroup_info 0
		.amdhsa_system_vgpr_workitem_id 0
		.amdhsa_next_free_vgpr 5
		.amdhsa_next_free_sgpr 24
		.amdhsa_accum_offset 8
		.amdhsa_reserve_vcc 1
		.amdhsa_reserve_flat_scratch 0
		.amdhsa_float_round_mode_32 0
		.amdhsa_float_round_mode_16_64 0
		.amdhsa_float_denorm_mode_32 3
		.amdhsa_float_denorm_mode_16_64 3
		.amdhsa_dx10_clamp 1
		.amdhsa_ieee_mode 1
		.amdhsa_fp16_overflow 0
		.amdhsa_tg_split 0
		.amdhsa_exception_fp_ieee_invalid_op 0
		.amdhsa_exception_fp_denorm_src 0
		.amdhsa_exception_fp_ieee_div_zero 0
		.amdhsa_exception_fp_ieee_overflow 0
		.amdhsa_exception_fp_ieee_underflow 0
		.amdhsa_exception_fp_ieee_inexact 0
		.amdhsa_exception_int_div_zero 0
	.end_amdhsa_kernel
	.section	.text._ZL30rocblas_geam_1D_2matrix_deviceILi256EdPKdPdEvmT0_T1_llT2_lli,"axG",@progbits,_ZL30rocblas_geam_1D_2matrix_deviceILi256EdPKdPdEvmT0_T1_llT2_lli,comdat
.Lfunc_end12:
	.size	_ZL30rocblas_geam_1D_2matrix_deviceILi256EdPKdPdEvmT0_T1_llT2_lli, .Lfunc_end12-_ZL30rocblas_geam_1D_2matrix_deviceILi256EdPKdPdEvmT0_T1_llT2_lli
                                        ; -- End function
	.section	.AMDGPU.csdata,"",@progbits
; Kernel info:
; codeLenInByte = 224
; NumSgprs: 28
; NumVgprs: 5
; NumAgprs: 0
; TotalNumVgprs: 5
; ScratchSize: 0
; MemoryBound: 0
; FloatMode: 240
; IeeeMode: 1
; LDSByteSize: 0 bytes/workgroup (compile time only)
; SGPRBlocks: 3
; VGPRBlocks: 0
; NumSGPRsForWavesPerEU: 28
; NumVGPRsForWavesPerEU: 5
; AccumOffset: 8
; Occupancy: 8
; WaveLimiterHint : 0
; COMPUTE_PGM_RSRC2:SCRATCH_EN: 0
; COMPUTE_PGM_RSRC2:USER_SGPR: 6
; COMPUTE_PGM_RSRC2:TRAP_HANDLER: 0
; COMPUTE_PGM_RSRC2:TGID_X_EN: 1
; COMPUTE_PGM_RSRC2:TGID_Y_EN: 0
; COMPUTE_PGM_RSRC2:TGID_Z_EN: 1
; COMPUTE_PGM_RSRC2:TIDIG_COMP_CNT: 0
; COMPUTE_PGM_RSRC3_GFX90A:ACCUM_OFFSET: 1
; COMPUTE_PGM_RSRC3_GFX90A:TG_SPLIT: 0
	.section	.text._ZL27rocblas_geam_2matrix_deviceILi16ELi16EdPKdPdEv18rocblas_operation_iiT1_T2_lllT3_llli,"axG",@progbits,_ZL27rocblas_geam_2matrix_deviceILi16ELi16EdPKdPdEv18rocblas_operation_iiT1_T2_lllT3_llli,comdat
	.globl	_ZL27rocblas_geam_2matrix_deviceILi16ELi16EdPKdPdEv18rocblas_operation_iiT1_T2_lllT3_llli ; -- Begin function _ZL27rocblas_geam_2matrix_deviceILi16ELi16EdPKdPdEv18rocblas_operation_iiT1_T2_lllT3_llli
	.p2align	8
	.type	_ZL27rocblas_geam_2matrix_deviceILi16ELi16EdPKdPdEv18rocblas_operation_iiT1_T2_lllT3_llli,@function
_ZL27rocblas_geam_2matrix_deviceILi16ELi16EdPKdPdEv18rocblas_operation_iiT1_T2_lllT3_llli: ; @_ZL27rocblas_geam_2matrix_deviceILi16ELi16EdPKdPdEv18rocblas_operation_iiT1_T2_lllT3_llli
; %bb.0:
	s_load_dwordx4 s[24:27], s[4:5], 0x0
	v_and_b32_e32 v2, 0x3ff, v0
	v_bfe_u32 v0, v0, 10, 10
	s_waitcnt lgkmcnt(0)
	s_add_i32 s0, s25, -1
	s_ashr_i32 s1, s0, 31
	s_lshr_b32 s1, s1, 28
	s_add_i32 s0, s0, s1
	s_ashr_i32 s0, s0, 4
	s_add_i32 s1, s0, 1
	v_cvt_f32_u32_e32 v1, s1
	s_not_b32 s0, s0
	v_rcp_iflag_f32_e32 v1, v1
	v_mul_f32_e32 v1, 0x4f7ffffe, v1
	v_cvt_u32_f32_e32 v1, v1
	v_readfirstlane_b32 s2, v1
	s_mul_i32 s0, s0, s2
	s_mul_hi_u32 s0, s2, s0
	s_add_i32 s2, s2, s0
	s_mul_hi_u32 s0, s6, s2
	s_mul_i32 s2, s0, s1
	s_sub_i32 s2, s6, s2
	s_add_i32 s3, s0, 1
	s_sub_i32 s8, s2, s1
	s_cmp_ge_u32 s2, s1
	s_cselect_b32 s0, s3, s0
	s_cselect_b32 s2, s8, s2
	s_add_i32 s3, s0, 1
	s_cmp_ge_u32 s2, s1
	s_cselect_b32 s0, s3, s0
	s_mul_i32 s1, s0, s1
	v_lshl_add_u32 v4, s0, 4, v0
	s_sub_i32 s0, s6, s1
	v_lshl_add_u32 v0, s0, 4, v2
	v_cmp_gt_i32_e32 vcc, s25, v0
	v_cmp_gt_i32_e64 s[0:1], s26, v4
	s_and_b64 s[0:1], vcc, s[0:1]
	s_and_saveexec_b64 s[2:3], s[0:1]
	s_cbranch_execz .LBB13_4
; %bb.1:
	s_load_dwordx16 s[8:23], s[4:5], 0x10
	v_ashrrev_i32_e32 v1, 31, v0
	v_ashrrev_i32_e32 v5, 31, v4
	v_pk_mov_b32 v[2:3], 0, 0
	s_waitcnt lgkmcnt(0)
	v_cmp_eq_f64_e64 s[0:1], s[8:9], 0
	s_and_b64 vcc, exec, s[0:1]
	s_cbranch_vccnz .LBB13_3
; %bb.2:
	s_mul_i32 s0, s7, s17
	s_mul_hi_u32 s1, s7, s16
	s_add_i32 s1, s1, s0
	s_mul_i32 s0, s7, s16
	s_lshl_b64 s[0:1], s[0:1], 3
	s_add_u32 s2, s10, s0
	s_addc_u32 s3, s11, s1
	s_lshl_b64 s[0:1], s[12:13], 3
	s_add_u32 s2, s2, s0
	s_addc_u32 s3, s3, s1
	s_cmpk_eq_i32 s24, 0x6f
	s_cselect_b64 vcc, -1, 0
	v_cndmask_b32_e32 v6, v0, v4, vcc
	v_cndmask_b32_e32 v7, v1, v5, vcc
	v_mul_lo_u32 v8, v7, s14
	v_mul_lo_u32 v9, v6, s15
	v_mad_u64_u32 v[6:7], s[0:1], v6, s14, 0
	v_add3_u32 v7, v7, v9, v8
	v_lshlrev_b64 v[6:7], 3, v[6:7]
	v_cndmask_b32_e32 v3, v5, v1, vcc
	v_cndmask_b32_e32 v2, v4, v0, vcc
	v_mov_b32_e32 v8, s3
	v_add_co_u32_e32 v6, vcc, s2, v6
	v_addc_co_u32_e32 v7, vcc, v8, v7, vcc
	v_lshlrev_b64 v[2:3], 3, v[2:3]
	v_add_co_u32_e32 v2, vcc, v6, v2
	v_addc_co_u32_e32 v3, vcc, v7, v3, vcc
	global_load_dwordx2 v[2:3], v[2:3], off
	s_waitcnt vmcnt(0)
	v_mul_f64 v[2:3], v[2:3], s[8:9]
.LBB13_3:
	s_load_dwordx2 s[0:1], s[4:5], 0x50
	v_mul_lo_u32 v6, v5, s22
	v_mul_lo_u32 v7, v4, s23
	v_lshlrev_b64 v[0:1], 3, v[0:1]
	s_waitcnt lgkmcnt(0)
	s_mul_i32 s1, s7, s1
	s_mul_hi_u32 s2, s7, s0
	s_mul_i32 s0, s7, s0
	s_add_i32 s1, s2, s1
	s_lshl_b64 s[0:1], s[0:1], 3
	s_add_u32 s2, s18, s0
	s_addc_u32 s3, s19, s1
	s_lshl_b64 s[0:1], s[20:21], 3
	s_add_u32 s2, s2, s0
	s_addc_u32 s3, s3, s1
	v_mad_u64_u32 v[4:5], s[0:1], v4, s22, 0
	v_add3_u32 v5, v5, v7, v6
	v_lshlrev_b64 v[4:5], 3, v[4:5]
	v_mov_b32_e32 v6, s3
	v_add_co_u32_e32 v4, vcc, s2, v4
	v_addc_co_u32_e32 v5, vcc, v6, v5, vcc
	v_add_co_u32_e32 v0, vcc, v4, v0
	v_addc_co_u32_e32 v1, vcc, v5, v1, vcc
	global_store_dwordx2 v[0:1], v[2:3], off
.LBB13_4:
	s_endpgm
	.section	.rodata,"a",@progbits
	.p2align	6, 0x0
	.amdhsa_kernel _ZL27rocblas_geam_2matrix_deviceILi16ELi16EdPKdPdEv18rocblas_operation_iiT1_T2_lllT3_llli
		.amdhsa_group_segment_fixed_size 0
		.amdhsa_private_segment_fixed_size 0
		.amdhsa_kernarg_size 92
		.amdhsa_user_sgpr_count 6
		.amdhsa_user_sgpr_private_segment_buffer 1
		.amdhsa_user_sgpr_dispatch_ptr 0
		.amdhsa_user_sgpr_queue_ptr 0
		.amdhsa_user_sgpr_kernarg_segment_ptr 1
		.amdhsa_user_sgpr_dispatch_id 0
		.amdhsa_user_sgpr_flat_scratch_init 0
		.amdhsa_user_sgpr_kernarg_preload_length 0
		.amdhsa_user_sgpr_kernarg_preload_offset 0
		.amdhsa_user_sgpr_private_segment_size 0
		.amdhsa_uses_dynamic_stack 0
		.amdhsa_system_sgpr_private_segment_wavefront_offset 0
		.amdhsa_system_sgpr_workgroup_id_x 1
		.amdhsa_system_sgpr_workgroup_id_y 0
		.amdhsa_system_sgpr_workgroup_id_z 1
		.amdhsa_system_sgpr_workgroup_info 0
		.amdhsa_system_vgpr_workitem_id 1
		.amdhsa_next_free_vgpr 10
		.amdhsa_next_free_sgpr 28
		.amdhsa_accum_offset 12
		.amdhsa_reserve_vcc 1
		.amdhsa_reserve_flat_scratch 0
		.amdhsa_float_round_mode_32 0
		.amdhsa_float_round_mode_16_64 0
		.amdhsa_float_denorm_mode_32 3
		.amdhsa_float_denorm_mode_16_64 3
		.amdhsa_dx10_clamp 1
		.amdhsa_ieee_mode 1
		.amdhsa_fp16_overflow 0
		.amdhsa_tg_split 0
		.amdhsa_exception_fp_ieee_invalid_op 0
		.amdhsa_exception_fp_denorm_src 0
		.amdhsa_exception_fp_ieee_div_zero 0
		.amdhsa_exception_fp_ieee_overflow 0
		.amdhsa_exception_fp_ieee_underflow 0
		.amdhsa_exception_fp_ieee_inexact 0
		.amdhsa_exception_int_div_zero 0
	.end_amdhsa_kernel
	.section	.text._ZL27rocblas_geam_2matrix_deviceILi16ELi16EdPKdPdEv18rocblas_operation_iiT1_T2_lllT3_llli,"axG",@progbits,_ZL27rocblas_geam_2matrix_deviceILi16ELi16EdPKdPdEv18rocblas_operation_iiT1_T2_lllT3_llli,comdat
.Lfunc_end13:
	.size	_ZL27rocblas_geam_2matrix_deviceILi16ELi16EdPKdPdEv18rocblas_operation_iiT1_T2_lllT3_llli, .Lfunc_end13-_ZL27rocblas_geam_2matrix_deviceILi16ELi16EdPKdPdEv18rocblas_operation_iiT1_T2_lllT3_llli
                                        ; -- End function
	.section	.AMDGPU.csdata,"",@progbits
; Kernel info:
; codeLenInByte = 512
; NumSgprs: 32
; NumVgprs: 10
; NumAgprs: 0
; TotalNumVgprs: 10
; ScratchSize: 0
; MemoryBound: 0
; FloatMode: 240
; IeeeMode: 1
; LDSByteSize: 0 bytes/workgroup (compile time only)
; SGPRBlocks: 3
; VGPRBlocks: 1
; NumSGPRsForWavesPerEU: 32
; NumVGPRsForWavesPerEU: 10
; AccumOffset: 12
; Occupancy: 8
; WaveLimiterHint : 0
; COMPUTE_PGM_RSRC2:SCRATCH_EN: 0
; COMPUTE_PGM_RSRC2:USER_SGPR: 6
; COMPUTE_PGM_RSRC2:TRAP_HANDLER: 0
; COMPUTE_PGM_RSRC2:TGID_X_EN: 1
; COMPUTE_PGM_RSRC2:TGID_Y_EN: 0
; COMPUTE_PGM_RSRC2:TGID_Z_EN: 1
; COMPUTE_PGM_RSRC2:TIDIG_COMP_CNT: 1
; COMPUTE_PGM_RSRC3_GFX90A:ACCUM_OFFSET: 2
; COMPUTE_PGM_RSRC3_GFX90A:TG_SPLIT: 0
	.section	.text._ZL22rocblas_geam_1D_deviceILi256EdPKdPdEvmT0_T1_llS3_S4_llT2_lli,"axG",@progbits,_ZL22rocblas_geam_1D_deviceILi256EdPKdPdEvmT0_T1_llS3_S4_llT2_lli,comdat
	.globl	_ZL22rocblas_geam_1D_deviceILi256EdPKdPdEvmT0_T1_llS3_S4_llT2_lli ; -- Begin function _ZL22rocblas_geam_1D_deviceILi256EdPKdPdEvmT0_T1_llS3_S4_llT2_lli
	.p2align	8
	.type	_ZL22rocblas_geam_1D_deviceILi256EdPKdPdEvmT0_T1_llS3_S4_llT2_lli,@function
_ZL22rocblas_geam_1D_deviceILi256EdPKdPdEvmT0_T1_llS3_S4_llT2_lli: ; @_ZL22rocblas_geam_1D_deviceILi256EdPKdPdEvmT0_T1_llS3_S4_llT2_lli
; %bb.0:
	s_load_dword s0, s[4:5], 0x74
	s_load_dwordx16 s[8:23], s[4:5], 0x0
	v_mov_b32_e32 v1, 0
	v_mov_b32_e32 v2, s6
	s_waitcnt lgkmcnt(0)
	s_and_b32 s0, s0, 0xffff
	v_mad_u64_u32 v[0:1], s[0:1], s0, v2, v[0:1]
	v_cmp_gt_u64_e32 vcc, s[8:9], v[0:1]
	s_and_saveexec_b64 s[0:1], vcc
	s_cbranch_execz .LBB14_8
; %bb.1:
	s_load_dwordx8 s[24:31], s[4:5], 0x40
	v_cmp_eq_f64_e64 s[0:1], s[10:11], 0
	v_cmp_eq_f64_e64 s[2:3], s[18:19], 0
	s_and_b64 s[4:5], s[0:1], s[2:3]
	v_pk_mov_b32 v[2:3], 0, 0
	s_and_b64 vcc, exec, s[4:5]
	s_cbranch_vccnz .LBB14_7
; %bb.2:
	v_pk_mov_b32 v[2:3], 0, 0
	s_and_b64 vcc, exec, s[2:3]
	v_pk_mov_b32 v[4:5], v[2:3], v[2:3] op_sel:[0,1]
	s_cbranch_vccnz .LBB14_4
; %bb.3:
	s_waitcnt lgkmcnt(0)
	s_mul_i32 s2, s7, s25
	s_mul_hi_u32 s3, s7, s24
	s_add_i32 s3, s3, s2
	s_mul_i32 s2, s7, s24
	s_lshl_b64 s[2:3], s[2:3], 3
	s_add_u32 s4, s20, s2
	s_addc_u32 s5, s21, s3
	s_lshl_b64 s[2:3], s[22:23], 3
	s_add_u32 s2, s4, s2
	s_addc_u32 s3, s5, s3
	v_lshlrev_b64 v[4:5], 3, v[0:1]
	v_mov_b32_e32 v6, s3
	v_add_co_u32_e32 v4, vcc, s2, v4
	v_addc_co_u32_e32 v5, vcc, v6, v5, vcc
	global_load_dwordx2 v[4:5], v[4:5], off
	s_waitcnt vmcnt(0)
	v_mul_f64 v[4:5], v[4:5], s[18:19]
.LBB14_4:
	s_and_b64 vcc, exec, s[0:1]
	s_cbranch_vccnz .LBB14_6
; %bb.5:
	s_mul_i32 s0, s7, s17
	s_mul_hi_u32 s1, s7, s16
	s_add_i32 s1, s1, s0
	s_mul_i32 s0, s7, s16
	s_lshl_b64 s[0:1], s[0:1], 3
	s_add_u32 s2, s12, s0
	s_addc_u32 s3, s13, s1
	s_lshl_b64 s[0:1], s[14:15], 3
	s_add_u32 s0, s2, s0
	s_addc_u32 s1, s3, s1
	v_lshlrev_b64 v[2:3], 3, v[0:1]
	v_mov_b32_e32 v6, s1
	v_add_co_u32_e32 v2, vcc, s0, v2
	v_addc_co_u32_e32 v3, vcc, v6, v3, vcc
	global_load_dwordx2 v[2:3], v[2:3], off
	s_waitcnt vmcnt(0)
	v_mul_f64 v[2:3], v[2:3], s[10:11]
.LBB14_6:
	v_add_f64 v[2:3], v[4:5], v[2:3]
.LBB14_7:
	s_waitcnt lgkmcnt(0)
	s_mul_i32 s0, s7, s31
	s_mul_hi_u32 s1, s7, s30
	s_add_i32 s1, s1, s0
	s_mul_i32 s0, s7, s30
	s_lshl_b64 s[0:1], s[0:1], 3
	s_add_u32 s2, s26, s0
	s_addc_u32 s3, s27, s1
	s_lshl_b64 s[0:1], s[28:29], 3
	s_add_u32 s0, s2, s0
	s_addc_u32 s1, s3, s1
	v_lshlrev_b64 v[0:1], 3, v[0:1]
	v_mov_b32_e32 v4, s1
	v_add_co_u32_e32 v0, vcc, s0, v0
	v_addc_co_u32_e32 v1, vcc, v4, v1, vcc
	global_store_dwordx2 v[0:1], v[2:3], off
.LBB14_8:
	s_endpgm
	.section	.rodata,"a",@progbits
	.p2align	6, 0x0
	.amdhsa_kernel _ZL22rocblas_geam_1D_deviceILi256EdPKdPdEvmT0_T1_llS3_S4_llT2_lli
		.amdhsa_group_segment_fixed_size 0
		.amdhsa_private_segment_fixed_size 0
		.amdhsa_kernarg_size 360
		.amdhsa_user_sgpr_count 6
		.amdhsa_user_sgpr_private_segment_buffer 1
		.amdhsa_user_sgpr_dispatch_ptr 0
		.amdhsa_user_sgpr_queue_ptr 0
		.amdhsa_user_sgpr_kernarg_segment_ptr 1
		.amdhsa_user_sgpr_dispatch_id 0
		.amdhsa_user_sgpr_flat_scratch_init 0
		.amdhsa_user_sgpr_kernarg_preload_length 0
		.amdhsa_user_sgpr_kernarg_preload_offset 0
		.amdhsa_user_sgpr_private_segment_size 0
		.amdhsa_uses_dynamic_stack 0
		.amdhsa_system_sgpr_private_segment_wavefront_offset 0
		.amdhsa_system_sgpr_workgroup_id_x 1
		.amdhsa_system_sgpr_workgroup_id_y 0
		.amdhsa_system_sgpr_workgroup_id_z 1
		.amdhsa_system_sgpr_workgroup_info 0
		.amdhsa_system_vgpr_workitem_id 0
		.amdhsa_next_free_vgpr 7
		.amdhsa_next_free_sgpr 32
		.amdhsa_accum_offset 8
		.amdhsa_reserve_vcc 1
		.amdhsa_reserve_flat_scratch 0
		.amdhsa_float_round_mode_32 0
		.amdhsa_float_round_mode_16_64 0
		.amdhsa_float_denorm_mode_32 3
		.amdhsa_float_denorm_mode_16_64 3
		.amdhsa_dx10_clamp 1
		.amdhsa_ieee_mode 1
		.amdhsa_fp16_overflow 0
		.amdhsa_tg_split 0
		.amdhsa_exception_fp_ieee_invalid_op 0
		.amdhsa_exception_fp_denorm_src 0
		.amdhsa_exception_fp_ieee_div_zero 0
		.amdhsa_exception_fp_ieee_overflow 0
		.amdhsa_exception_fp_ieee_underflow 0
		.amdhsa_exception_fp_ieee_inexact 0
		.amdhsa_exception_int_div_zero 0
	.end_amdhsa_kernel
	.section	.text._ZL22rocblas_geam_1D_deviceILi256EdPKdPdEvmT0_T1_llS3_S4_llT2_lli,"axG",@progbits,_ZL22rocblas_geam_1D_deviceILi256EdPKdPdEvmT0_T1_llS3_S4_llT2_lli,comdat
.Lfunc_end14:
	.size	_ZL22rocblas_geam_1D_deviceILi256EdPKdPdEvmT0_T1_llS3_S4_llT2_lli, .Lfunc_end14-_ZL22rocblas_geam_1D_deviceILi256EdPKdPdEvmT0_T1_llS3_S4_llT2_lli
                                        ; -- End function
	.section	.AMDGPU.csdata,"",@progbits
; Kernel info:
; codeLenInByte = 380
; NumSgprs: 36
; NumVgprs: 7
; NumAgprs: 0
; TotalNumVgprs: 7
; ScratchSize: 0
; MemoryBound: 0
; FloatMode: 240
; IeeeMode: 1
; LDSByteSize: 0 bytes/workgroup (compile time only)
; SGPRBlocks: 4
; VGPRBlocks: 0
; NumSGPRsForWavesPerEU: 36
; NumVGPRsForWavesPerEU: 7
; AccumOffset: 8
; Occupancy: 8
; WaveLimiterHint : 0
; COMPUTE_PGM_RSRC2:SCRATCH_EN: 0
; COMPUTE_PGM_RSRC2:USER_SGPR: 6
; COMPUTE_PGM_RSRC2:TRAP_HANDLER: 0
; COMPUTE_PGM_RSRC2:TGID_X_EN: 1
; COMPUTE_PGM_RSRC2:TGID_Y_EN: 0
; COMPUTE_PGM_RSRC2:TGID_Z_EN: 1
; COMPUTE_PGM_RSRC2:TIDIG_COMP_CNT: 0
; COMPUTE_PGM_RSRC3_GFX90A:ACCUM_OFFSET: 1
; COMPUTE_PGM_RSRC3_GFX90A:TG_SPLIT: 0
	.section	.text._ZL22rocblas_geam_1D_deviceILi256EPKdS1_PdEvmT0_T1_llS3_S4_llT2_lli,"axG",@progbits,_ZL22rocblas_geam_1D_deviceILi256EPKdS1_PdEvmT0_T1_llS3_S4_llT2_lli,comdat
	.globl	_ZL22rocblas_geam_1D_deviceILi256EPKdS1_PdEvmT0_T1_llS3_S4_llT2_lli ; -- Begin function _ZL22rocblas_geam_1D_deviceILi256EPKdS1_PdEvmT0_T1_llS3_S4_llT2_lli
	.p2align	8
	.type	_ZL22rocblas_geam_1D_deviceILi256EPKdS1_PdEvmT0_T1_llS3_S4_llT2_lli,@function
_ZL22rocblas_geam_1D_deviceILi256EPKdS1_PdEvmT0_T1_llS3_S4_llT2_lli: ; @_ZL22rocblas_geam_1D_deviceILi256EPKdS1_PdEvmT0_T1_llS3_S4_llT2_lli
; %bb.0:
	s_load_dword s0, s[4:5], 0x74
	s_load_dwordx16 s[8:23], s[4:5], 0x0
	v_mov_b32_e32 v1, 0
	v_mov_b32_e32 v2, s6
	s_waitcnt lgkmcnt(0)
	s_and_b32 s0, s0, 0xffff
	v_mad_u64_u32 v[0:1], s[0:1], s0, v2, v[0:1]
	v_cmp_gt_u64_e32 vcc, s[8:9], v[0:1]
	s_and_saveexec_b64 s[0:1], vcc
	s_cbranch_execz .LBB15_8
; %bb.1:
	s_load_dwordx2 s[0:1], s[10:11], 0x0
	s_load_dwordx2 s[2:3], s[18:19], 0x0
	s_load_dwordx8 s[24:31], s[4:5], 0x40
	v_pk_mov_b32 v[2:3], 0, 0
	s_waitcnt lgkmcnt(0)
	v_cmp_eq_f64_e64 s[4:5], s[0:1], 0
	v_cmp_eq_f64_e64 s[8:9], s[2:3], 0
	s_and_b64 s[10:11], s[4:5], s[8:9]
	s_and_b64 vcc, exec, s[10:11]
	s_cbranch_vccnz .LBB15_7
; %bb.2:
	v_pk_mov_b32 v[2:3], 0, 0
	s_and_b64 vcc, exec, s[8:9]
	v_pk_mov_b32 v[4:5], v[2:3], v[2:3] op_sel:[0,1]
	s_cbranch_vccnz .LBB15_4
; %bb.3:
	s_mul_i32 s6, s7, s25
	s_mul_hi_u32 s8, s7, s24
	s_add_i32 s9, s8, s6
	s_mul_i32 s8, s7, s24
	s_lshl_b64 s[8:9], s[8:9], 3
	s_add_u32 s6, s20, s8
	s_addc_u32 s10, s21, s9
	s_lshl_b64 s[8:9], s[22:23], 3
	s_add_u32 s6, s6, s8
	s_addc_u32 s8, s10, s9
	v_lshlrev_b64 v[4:5], 3, v[0:1]
	v_mov_b32_e32 v6, s8
	v_add_co_u32_e32 v4, vcc, s6, v4
	v_addc_co_u32_e32 v5, vcc, v6, v5, vcc
	global_load_dwordx2 v[4:5], v[4:5], off
	s_waitcnt vmcnt(0)
	v_mul_f64 v[4:5], s[2:3], v[4:5]
.LBB15_4:
	s_and_b64 vcc, exec, s[4:5]
	s_cbranch_vccnz .LBB15_6
; %bb.5:
	s_mul_i32 s2, s7, s17
	s_mul_hi_u32 s3, s7, s16
	s_add_i32 s3, s3, s2
	s_mul_i32 s2, s7, s16
	s_lshl_b64 s[2:3], s[2:3], 3
	s_add_u32 s4, s12, s2
	s_addc_u32 s5, s13, s3
	s_lshl_b64 s[2:3], s[14:15], 3
	s_add_u32 s2, s4, s2
	s_addc_u32 s3, s5, s3
	v_lshlrev_b64 v[2:3], 3, v[0:1]
	v_mov_b32_e32 v6, s3
	v_add_co_u32_e32 v2, vcc, s2, v2
	v_addc_co_u32_e32 v3, vcc, v6, v3, vcc
	global_load_dwordx2 v[2:3], v[2:3], off
	s_waitcnt vmcnt(0)
	v_mul_f64 v[2:3], s[0:1], v[2:3]
.LBB15_6:
	v_add_f64 v[2:3], v[4:5], v[2:3]
.LBB15_7:
	s_mul_i32 s0, s7, s31
	s_mul_hi_u32 s1, s7, s30
	s_add_i32 s1, s1, s0
	s_mul_i32 s0, s7, s30
	s_lshl_b64 s[0:1], s[0:1], 3
	s_add_u32 s2, s26, s0
	s_addc_u32 s3, s27, s1
	s_lshl_b64 s[0:1], s[28:29], 3
	s_add_u32 s0, s2, s0
	s_addc_u32 s1, s3, s1
	v_lshlrev_b64 v[0:1], 3, v[0:1]
	v_mov_b32_e32 v4, s1
	v_add_co_u32_e32 v0, vcc, s0, v0
	v_addc_co_u32_e32 v1, vcc, v4, v1, vcc
	global_store_dwordx2 v[0:1], v[2:3], off
.LBB15_8:
	s_endpgm
	.section	.rodata,"a",@progbits
	.p2align	6, 0x0
	.amdhsa_kernel _ZL22rocblas_geam_1D_deviceILi256EPKdS1_PdEvmT0_T1_llS3_S4_llT2_lli
		.amdhsa_group_segment_fixed_size 0
		.amdhsa_private_segment_fixed_size 0
		.amdhsa_kernarg_size 360
		.amdhsa_user_sgpr_count 6
		.amdhsa_user_sgpr_private_segment_buffer 1
		.amdhsa_user_sgpr_dispatch_ptr 0
		.amdhsa_user_sgpr_queue_ptr 0
		.amdhsa_user_sgpr_kernarg_segment_ptr 1
		.amdhsa_user_sgpr_dispatch_id 0
		.amdhsa_user_sgpr_flat_scratch_init 0
		.amdhsa_user_sgpr_kernarg_preload_length 0
		.amdhsa_user_sgpr_kernarg_preload_offset 0
		.amdhsa_user_sgpr_private_segment_size 0
		.amdhsa_uses_dynamic_stack 0
		.amdhsa_system_sgpr_private_segment_wavefront_offset 0
		.amdhsa_system_sgpr_workgroup_id_x 1
		.amdhsa_system_sgpr_workgroup_id_y 0
		.amdhsa_system_sgpr_workgroup_id_z 1
		.amdhsa_system_sgpr_workgroup_info 0
		.amdhsa_system_vgpr_workitem_id 0
		.amdhsa_next_free_vgpr 7
		.amdhsa_next_free_sgpr 32
		.amdhsa_accum_offset 8
		.amdhsa_reserve_vcc 1
		.amdhsa_reserve_flat_scratch 0
		.amdhsa_float_round_mode_32 0
		.amdhsa_float_round_mode_16_64 0
		.amdhsa_float_denorm_mode_32 3
		.amdhsa_float_denorm_mode_16_64 3
		.amdhsa_dx10_clamp 1
		.amdhsa_ieee_mode 1
		.amdhsa_fp16_overflow 0
		.amdhsa_tg_split 0
		.amdhsa_exception_fp_ieee_invalid_op 0
		.amdhsa_exception_fp_denorm_src 0
		.amdhsa_exception_fp_ieee_div_zero 0
		.amdhsa_exception_fp_ieee_overflow 0
		.amdhsa_exception_fp_ieee_underflow 0
		.amdhsa_exception_fp_ieee_inexact 0
		.amdhsa_exception_int_div_zero 0
	.end_amdhsa_kernel
	.section	.text._ZL22rocblas_geam_1D_deviceILi256EPKdS1_PdEvmT0_T1_llS3_S4_llT2_lli,"axG",@progbits,_ZL22rocblas_geam_1D_deviceILi256EPKdS1_PdEvmT0_T1_llS3_S4_llT2_lli,comdat
.Lfunc_end15:
	.size	_ZL22rocblas_geam_1D_deviceILi256EPKdS1_PdEvmT0_T1_llS3_S4_llT2_lli, .Lfunc_end15-_ZL22rocblas_geam_1D_deviceILi256EPKdS1_PdEvmT0_T1_llS3_S4_llT2_lli
                                        ; -- End function
	.section	.AMDGPU.csdata,"",@progbits
; Kernel info:
; codeLenInByte = 392
; NumSgprs: 36
; NumVgprs: 7
; NumAgprs: 0
; TotalNumVgprs: 7
; ScratchSize: 0
; MemoryBound: 0
; FloatMode: 240
; IeeeMode: 1
; LDSByteSize: 0 bytes/workgroup (compile time only)
; SGPRBlocks: 4
; VGPRBlocks: 0
; NumSGPRsForWavesPerEU: 36
; NumVGPRsForWavesPerEU: 7
; AccumOffset: 8
; Occupancy: 8
; WaveLimiterHint : 0
; COMPUTE_PGM_RSRC2:SCRATCH_EN: 0
; COMPUTE_PGM_RSRC2:USER_SGPR: 6
; COMPUTE_PGM_RSRC2:TRAP_HANDLER: 0
; COMPUTE_PGM_RSRC2:TGID_X_EN: 1
; COMPUTE_PGM_RSRC2:TGID_Y_EN: 0
; COMPUTE_PGM_RSRC2:TGID_Z_EN: 1
; COMPUTE_PGM_RSRC2:TIDIG_COMP_CNT: 0
; COMPUTE_PGM_RSRC3_GFX90A:ACCUM_OFFSET: 1
; COMPUTE_PGM_RSRC3_GFX90A:TG_SPLIT: 0
	.section	.text._ZL19rocblas_geam_deviceILi16ELi16EdPKdPdEv18rocblas_operation_S3_iiT1_T2_lllS4_S5_lllT3_llli,"axG",@progbits,_ZL19rocblas_geam_deviceILi16ELi16EdPKdPdEv18rocblas_operation_S3_iiT1_T2_lllS4_S5_lllT3_llli,comdat
	.globl	_ZL19rocblas_geam_deviceILi16ELi16EdPKdPdEv18rocblas_operation_S3_iiT1_T2_lllS4_S5_lllT3_llli ; -- Begin function _ZL19rocblas_geam_deviceILi16ELi16EdPKdPdEv18rocblas_operation_S3_iiT1_T2_lllS4_S5_lllT3_llli
	.p2align	8
	.type	_ZL19rocblas_geam_deviceILi16ELi16EdPKdPdEv18rocblas_operation_S3_iiT1_T2_lllS4_S5_lllT3_llli,@function
_ZL19rocblas_geam_deviceILi16ELi16EdPKdPdEv18rocblas_operation_S3_iiT1_T2_lllS4_S5_lllT3_llli: ; @_ZL19rocblas_geam_deviceILi16ELi16EdPKdPdEv18rocblas_operation_S3_iiT1_T2_lllS4_S5_lllT3_llli
; %bb.0:
	s_load_dwordx4 s[36:39], s[4:5], 0x0
	v_and_b32_e32 v2, 0x3ff, v0
	v_bfe_u32 v0, v0, 10, 10
	s_waitcnt lgkmcnt(0)
	s_add_i32 s0, s38, -1
	s_ashr_i32 s1, s0, 31
	s_lshr_b32 s1, s1, 28
	s_add_i32 s0, s0, s1
	s_ashr_i32 s0, s0, 4
	s_add_i32 s1, s0, 1
	v_cvt_f32_u32_e32 v1, s1
	s_not_b32 s0, s0
	v_rcp_iflag_f32_e32 v1, v1
	v_mul_f32_e32 v1, 0x4f7ffffe, v1
	v_cvt_u32_f32_e32 v1, v1
	v_readfirstlane_b32 s2, v1
	s_mul_i32 s0, s0, s2
	s_mul_hi_u32 s0, s2, s0
	s_add_i32 s2, s2, s0
	s_mul_hi_u32 s0, s6, s2
	s_mul_i32 s2, s0, s1
	s_sub_i32 s2, s6, s2
	s_add_i32 s3, s0, 1
	s_sub_i32 s8, s2, s1
	s_cmp_ge_u32 s2, s1
	s_cselect_b32 s0, s3, s0
	s_cselect_b32 s2, s8, s2
	s_add_i32 s3, s0, 1
	s_cmp_ge_u32 s2, s1
	s_cselect_b32 s0, s3, s0
	s_mul_i32 s1, s0, s1
	v_lshl_add_u32 v6, s0, 4, v0
	s_sub_i32 s0, s6, s1
	v_lshl_add_u32 v0, s0, 4, v2
	v_cmp_gt_i32_e32 vcc, s38, v0
	v_cmp_gt_i32_e64 s[0:1], s39, v6
	s_and_b64 s[0:1], vcc, s[0:1]
	s_and_saveexec_b64 s[2:3], s[0:1]
	s_cbranch_execz .LBB16_6
; %bb.1:
	s_load_dwordx16 s[8:23], s[4:5], 0x10
	v_pk_mov_b32 v[2:3], 0, 0
	v_ashrrev_i32_e32 v1, 31, v0
	v_ashrrev_i32_e32 v7, 31, v6
	v_pk_mov_b32 v[4:5], v[2:3], v[2:3] op_sel:[0,1]
	s_waitcnt lgkmcnt(0)
	v_cmp_eq_f64_e64 s[0:1], s[8:9], 0
	s_and_b64 vcc, exec, s[0:1]
	s_cbranch_vccnz .LBB16_3
; %bb.2:
	s_cmpk_eq_i32 s36, 0x6f
	s_cselect_b64 vcc, -1, 0
	v_cndmask_b32_e32 v4, v0, v6, vcc
	v_cndmask_b32_e32 v5, v1, v7, vcc
	v_mul_lo_u32 v8, v5, s14
	v_mul_lo_u32 v9, v4, s15
	v_mad_u64_u32 v[4:5], s[0:1], v4, s14, 0
	s_mul_i32 s0, s7, s17
	s_mul_hi_u32 s1, s7, s16
	s_add_i32 s1, s1, s0
	s_mul_i32 s0, s7, s16
	s_lshl_b64 s[0:1], s[0:1], 3
	s_add_u32 s2, s10, s0
	s_addc_u32 s3, s11, s1
	s_lshl_b64 s[0:1], s[12:13], 3
	v_add3_u32 v5, v5, v9, v8
	s_add_u32 s0, s2, s0
	s_addc_u32 s1, s3, s1
	v_lshlrev_b64 v[4:5], 3, v[4:5]
	v_cndmask_b32_e32 v9, v7, v1, vcc
	v_cndmask_b32_e32 v8, v6, v0, vcc
	v_mov_b32_e32 v10, s1
	v_add_co_u32_e32 v11, vcc, s0, v4
	v_addc_co_u32_e32 v10, vcc, v10, v5, vcc
	v_lshlrev_b64 v[4:5], 3, v[8:9]
	v_add_co_u32_e32 v4, vcc, v11, v4
	v_addc_co_u32_e32 v5, vcc, v10, v5, vcc
	global_load_dwordx2 v[4:5], v[4:5], off
.LBB16_3:
	s_load_dwordx8 s[24:31], s[4:5], 0x50
	s_load_dwordx4 s[0:3], s[4:5], 0x70
	v_cmp_eq_f64_e64 s[4:5], s[18:19], 0
	s_and_b64 vcc, exec, s[4:5]
	s_cbranch_vccnz .LBB16_5
; %bb.4:
	s_waitcnt lgkmcnt(0)
	s_mul_i32 s4, s7, s27
	s_mul_hi_u32 s5, s7, s26
	s_add_i32 s5, s5, s4
	s_mul_i32 s4, s7, s26
	s_lshl_b64 s[4:5], s[4:5], 3
	s_add_u32 s6, s20, s4
	s_addc_u32 s10, s21, s5
	s_lshl_b64 s[4:5], s[22:23], 3
	s_add_u32 s6, s6, s4
	s_addc_u32 s10, s10, s5
	s_cmpk_eq_i32 s37, 0x6f
	s_cselect_b64 vcc, -1, 0
	v_cndmask_b32_e32 v8, v0, v6, vcc
	v_cndmask_b32_e32 v9, v1, v7, vcc
	v_mul_lo_u32 v10, v9, s24
	v_mul_lo_u32 v11, v8, s25
	v_mad_u64_u32 v[8:9], s[4:5], v8, s24, 0
	v_add3_u32 v9, v9, v11, v10
	v_lshlrev_b64 v[8:9], 3, v[8:9]
	v_cndmask_b32_e32 v3, v7, v1, vcc
	v_cndmask_b32_e32 v2, v6, v0, vcc
	v_mov_b32_e32 v10, s10
	v_add_co_u32_e32 v8, vcc, s6, v8
	v_addc_co_u32_e32 v9, vcc, v10, v9, vcc
	v_lshlrev_b64 v[2:3], 3, v[2:3]
	v_add_co_u32_e32 v2, vcc, v8, v2
	v_addc_co_u32_e32 v3, vcc, v9, v3, vcc
	global_load_dwordx2 v[2:3], v[2:3], off
.LBB16_5:
	s_waitcnt lgkmcnt(0)
	s_mul_i32 s3, s7, s3
	s_mul_hi_u32 s4, s7, s2
	s_add_i32 s3, s4, s3
	s_mul_i32 s2, s7, s2
	s_lshl_b64 s[2:3], s[2:3], 3
	s_add_u32 s4, s28, s2
	s_addc_u32 s5, s29, s3
	s_lshl_b64 s[2:3], s[30:31], 3
	v_mul_lo_u32 v8, v7, s0
	v_mul_lo_u32 v9, v6, s1
	v_mad_u64_u32 v[6:7], s[0:1], v6, s0, 0
	s_add_u32 s2, s4, s2
	v_add3_u32 v7, v7, v9, v8
	s_waitcnt vmcnt(0)
	v_mul_f64 v[2:3], v[2:3], s[18:19]
	s_addc_u32 s3, s5, s3
	v_fmac_f64_e32 v[2:3], s[8:9], v[4:5]
	v_lshlrev_b64 v[4:5], 3, v[6:7]
	v_mov_b32_e32 v6, s3
	v_add_co_u32_e32 v4, vcc, s2, v4
	v_addc_co_u32_e32 v5, vcc, v6, v5, vcc
	v_lshlrev_b64 v[0:1], 3, v[0:1]
	v_add_co_u32_e32 v0, vcc, v4, v0
	v_addc_co_u32_e32 v1, vcc, v5, v1, vcc
	global_store_dwordx2 v[0:1], v[2:3], off
.LBB16_6:
	s_endpgm
	.section	.rodata,"a",@progbits
	.p2align	6, 0x0
	.amdhsa_kernel _ZL19rocblas_geam_deviceILi16ELi16EdPKdPdEv18rocblas_operation_S3_iiT1_T2_lllS4_S5_lllT3_llli
		.amdhsa_group_segment_fixed_size 0
		.amdhsa_private_segment_fixed_size 0
		.amdhsa_kernarg_size 132
		.amdhsa_user_sgpr_count 6
		.amdhsa_user_sgpr_private_segment_buffer 1
		.amdhsa_user_sgpr_dispatch_ptr 0
		.amdhsa_user_sgpr_queue_ptr 0
		.amdhsa_user_sgpr_kernarg_segment_ptr 1
		.amdhsa_user_sgpr_dispatch_id 0
		.amdhsa_user_sgpr_flat_scratch_init 0
		.amdhsa_user_sgpr_kernarg_preload_length 0
		.amdhsa_user_sgpr_kernarg_preload_offset 0
		.amdhsa_user_sgpr_private_segment_size 0
		.amdhsa_uses_dynamic_stack 0
		.amdhsa_system_sgpr_private_segment_wavefront_offset 0
		.amdhsa_system_sgpr_workgroup_id_x 1
		.amdhsa_system_sgpr_workgroup_id_y 0
		.amdhsa_system_sgpr_workgroup_id_z 1
		.amdhsa_system_sgpr_workgroup_info 0
		.amdhsa_system_vgpr_workitem_id 1
		.amdhsa_next_free_vgpr 12
		.amdhsa_next_free_sgpr 40
		.amdhsa_accum_offset 12
		.amdhsa_reserve_vcc 1
		.amdhsa_reserve_flat_scratch 0
		.amdhsa_float_round_mode_32 0
		.amdhsa_float_round_mode_16_64 0
		.amdhsa_float_denorm_mode_32 3
		.amdhsa_float_denorm_mode_16_64 3
		.amdhsa_dx10_clamp 1
		.amdhsa_ieee_mode 1
		.amdhsa_fp16_overflow 0
		.amdhsa_tg_split 0
		.amdhsa_exception_fp_ieee_invalid_op 0
		.amdhsa_exception_fp_denorm_src 0
		.amdhsa_exception_fp_ieee_div_zero 0
		.amdhsa_exception_fp_ieee_overflow 0
		.amdhsa_exception_fp_ieee_underflow 0
		.amdhsa_exception_fp_ieee_inexact 0
		.amdhsa_exception_int_div_zero 0
	.end_amdhsa_kernel
	.section	.text._ZL19rocblas_geam_deviceILi16ELi16EdPKdPdEv18rocblas_operation_S3_iiT1_T2_lllS4_S5_lllT3_llli,"axG",@progbits,_ZL19rocblas_geam_deviceILi16ELi16EdPKdPdEv18rocblas_operation_S3_iiT1_T2_lllS4_S5_lllT3_llli,comdat
.Lfunc_end16:
	.size	_ZL19rocblas_geam_deviceILi16ELi16EdPKdPdEv18rocblas_operation_S3_iiT1_T2_lllS4_S5_lllT3_llli, .Lfunc_end16-_ZL19rocblas_geam_deviceILi16ELi16EdPKdPdEv18rocblas_operation_S3_iiT1_T2_lllS4_S5_lllT3_llli
                                        ; -- End function
	.section	.AMDGPU.csdata,"",@progbits
; Kernel info:
; codeLenInByte = 692
; NumSgprs: 44
; NumVgprs: 12
; NumAgprs: 0
; TotalNumVgprs: 12
; ScratchSize: 0
; MemoryBound: 0
; FloatMode: 240
; IeeeMode: 1
; LDSByteSize: 0 bytes/workgroup (compile time only)
; SGPRBlocks: 5
; VGPRBlocks: 1
; NumSGPRsForWavesPerEU: 44
; NumVGPRsForWavesPerEU: 12
; AccumOffset: 12
; Occupancy: 8
; WaveLimiterHint : 0
; COMPUTE_PGM_RSRC2:SCRATCH_EN: 0
; COMPUTE_PGM_RSRC2:USER_SGPR: 6
; COMPUTE_PGM_RSRC2:TRAP_HANDLER: 0
; COMPUTE_PGM_RSRC2:TGID_X_EN: 1
; COMPUTE_PGM_RSRC2:TGID_Y_EN: 0
; COMPUTE_PGM_RSRC2:TGID_Z_EN: 1
; COMPUTE_PGM_RSRC2:TIDIG_COMP_CNT: 1
; COMPUTE_PGM_RSRC3_GFX90A:ACCUM_OFFSET: 2
; COMPUTE_PGM_RSRC3_GFX90A:TG_SPLIT: 0
	.section	.text._ZL19rocblas_geam_deviceILi16ELi16EPKdS1_PdEv18rocblas_operation_S3_iiT1_T2_lllS4_S5_lllT3_llli,"axG",@progbits,_ZL19rocblas_geam_deviceILi16ELi16EPKdS1_PdEv18rocblas_operation_S3_iiT1_T2_lllS4_S5_lllT3_llli,comdat
	.globl	_ZL19rocblas_geam_deviceILi16ELi16EPKdS1_PdEv18rocblas_operation_S3_iiT1_T2_lllS4_S5_lllT3_llli ; -- Begin function _ZL19rocblas_geam_deviceILi16ELi16EPKdS1_PdEv18rocblas_operation_S3_iiT1_T2_lllS4_S5_lllT3_llli
	.p2align	8
	.type	_ZL19rocblas_geam_deviceILi16ELi16EPKdS1_PdEv18rocblas_operation_S3_iiT1_T2_lllS4_S5_lllT3_llli,@function
_ZL19rocblas_geam_deviceILi16ELi16EPKdS1_PdEv18rocblas_operation_S3_iiT1_T2_lllS4_S5_lllT3_llli: ; @_ZL19rocblas_geam_deviceILi16ELi16EPKdS1_PdEv18rocblas_operation_S3_iiT1_T2_lllS4_S5_lllT3_llli
; %bb.0:
	s_load_dwordx4 s[24:27], s[4:5], 0x0
	v_and_b32_e32 v2, 0x3ff, v0
	v_bfe_u32 v0, v0, 10, 10
	s_waitcnt lgkmcnt(0)
	s_add_i32 s0, s26, -1
	s_ashr_i32 s1, s0, 31
	s_lshr_b32 s1, s1, 28
	s_add_i32 s0, s0, s1
	s_ashr_i32 s0, s0, 4
	s_add_i32 s1, s0, 1
	v_cvt_f32_u32_e32 v1, s1
	s_not_b32 s0, s0
	v_rcp_iflag_f32_e32 v1, v1
	v_mul_f32_e32 v1, 0x4f7ffffe, v1
	v_cvt_u32_f32_e32 v1, v1
	v_readfirstlane_b32 s2, v1
	s_mul_i32 s0, s0, s2
	s_mul_hi_u32 s0, s2, s0
	s_add_i32 s2, s2, s0
	s_mul_hi_u32 s0, s6, s2
	s_mul_i32 s2, s0, s1
	s_sub_i32 s2, s6, s2
	s_add_i32 s3, s0, 1
	s_sub_i32 s8, s2, s1
	s_cmp_ge_u32 s2, s1
	s_cselect_b32 s0, s3, s0
	s_cselect_b32 s2, s8, s2
	s_add_i32 s3, s0, 1
	s_cmp_ge_u32 s2, s1
	s_cselect_b32 s0, s3, s0
	s_mul_i32 s1, s0, s1
	v_lshl_add_u32 v6, s0, 4, v0
	s_sub_i32 s0, s6, s1
	v_lshl_add_u32 v0, s0, 4, v2
	v_cmp_gt_i32_e32 vcc, s26, v0
	v_cmp_gt_i32_e64 s[0:1], s27, v6
	s_and_b64 s[0:1], vcc, s[0:1]
	s_and_saveexec_b64 s[2:3], s[0:1]
	s_cbranch_execz .LBB17_6
; %bb.1:
	s_load_dwordx16 s[8:23], s[4:5], 0x10
	v_pk_mov_b32 v[2:3], 0, 0
	v_ashrrev_i32_e32 v1, 31, v0
	v_ashrrev_i32_e32 v7, 31, v6
	v_pk_mov_b32 v[4:5], v[2:3], v[2:3] op_sel:[0,1]
	s_waitcnt lgkmcnt(0)
	s_load_dwordx2 s[26:27], s[8:9], 0x0
	s_waitcnt lgkmcnt(0)
	v_cmp_eq_f64_e64 s[0:1], s[26:27], 0
	s_load_dwordx2 s[18:19], s[18:19], 0x0
	s_and_b64 vcc, exec, s[0:1]
	s_cbranch_vccnz .LBB17_3
; %bb.2:
	s_cmpk_eq_i32 s24, 0x6f
	s_cselect_b64 vcc, -1, 0
	v_cndmask_b32_e32 v4, v0, v6, vcc
	v_cndmask_b32_e32 v5, v1, v7, vcc
	v_mul_lo_u32 v8, v5, s14
	v_mul_lo_u32 v9, v4, s15
	v_mad_u64_u32 v[4:5], s[0:1], v4, s14, 0
	s_mul_i32 s0, s7, s17
	s_mul_hi_u32 s1, s7, s16
	s_add_i32 s1, s1, s0
	s_mul_i32 s0, s7, s16
	s_lshl_b64 s[0:1], s[0:1], 3
	s_add_u32 s2, s10, s0
	s_addc_u32 s3, s11, s1
	s_lshl_b64 s[0:1], s[12:13], 3
	v_add3_u32 v5, v5, v9, v8
	s_add_u32 s0, s2, s0
	s_addc_u32 s1, s3, s1
	v_lshlrev_b64 v[4:5], 3, v[4:5]
	v_cndmask_b32_e32 v9, v7, v1, vcc
	v_cndmask_b32_e32 v8, v6, v0, vcc
	v_mov_b32_e32 v10, s1
	v_add_co_u32_e32 v11, vcc, s0, v4
	v_addc_co_u32_e32 v10, vcc, v10, v5, vcc
	v_lshlrev_b64 v[4:5], 3, v[8:9]
	v_add_co_u32_e32 v4, vcc, v11, v4
	v_addc_co_u32_e32 v5, vcc, v10, v5, vcc
	global_load_dwordx2 v[4:5], v[4:5], off
.LBB17_3:
	s_load_dwordx8 s[8:15], s[4:5], 0x50
	s_load_dwordx4 s[0:3], s[4:5], 0x70
	s_waitcnt lgkmcnt(0)
	v_cmp_eq_f64_e64 s[4:5], s[18:19], 0
	s_and_b64 vcc, exec, s[4:5]
	s_cbranch_vccnz .LBB17_5
; %bb.4:
	s_mul_i32 s4, s7, s11
	s_mul_hi_u32 s5, s7, s10
	s_add_i32 s5, s5, s4
	s_mul_i32 s4, s7, s10
	s_lshl_b64 s[4:5], s[4:5], 3
	s_add_u32 s6, s20, s4
	s_addc_u32 s10, s21, s5
	s_lshl_b64 s[4:5], s[22:23], 3
	s_add_u32 s6, s6, s4
	s_addc_u32 s10, s10, s5
	s_cmpk_eq_i32 s25, 0x6f
	s_cselect_b64 vcc, -1, 0
	v_cndmask_b32_e32 v8, v0, v6, vcc
	v_cndmask_b32_e32 v9, v1, v7, vcc
	v_mul_lo_u32 v10, v9, s8
	v_mul_lo_u32 v11, v8, s9
	v_mad_u64_u32 v[8:9], s[4:5], v8, s8, 0
	v_add3_u32 v9, v9, v11, v10
	v_lshlrev_b64 v[8:9], 3, v[8:9]
	v_cndmask_b32_e32 v3, v7, v1, vcc
	v_cndmask_b32_e32 v2, v6, v0, vcc
	v_mov_b32_e32 v10, s10
	v_add_co_u32_e32 v8, vcc, s6, v8
	v_addc_co_u32_e32 v9, vcc, v10, v9, vcc
	v_lshlrev_b64 v[2:3], 3, v[2:3]
	v_add_co_u32_e32 v2, vcc, v8, v2
	v_addc_co_u32_e32 v3, vcc, v9, v3, vcc
	global_load_dwordx2 v[2:3], v[2:3], off
.LBB17_5:
	s_mul_i32 s3, s7, s3
	s_mul_hi_u32 s4, s7, s2
	s_add_i32 s3, s4, s3
	s_mul_i32 s2, s7, s2
	s_lshl_b64 s[2:3], s[2:3], 3
	s_add_u32 s4, s12, s2
	s_addc_u32 s5, s13, s3
	s_lshl_b64 s[2:3], s[14:15], 3
	v_mul_lo_u32 v8, v7, s0
	v_mul_lo_u32 v9, v6, s1
	v_mad_u64_u32 v[6:7], s[0:1], v6, s0, 0
	s_add_u32 s2, s4, s2
	v_add3_u32 v7, v7, v9, v8
	s_waitcnt vmcnt(0)
	v_mul_f64 v[2:3], s[18:19], v[2:3]
	s_addc_u32 s3, s5, s3
	v_fmac_f64_e32 v[2:3], s[26:27], v[4:5]
	v_lshlrev_b64 v[4:5], 3, v[6:7]
	v_mov_b32_e32 v6, s3
	v_add_co_u32_e32 v4, vcc, s2, v4
	v_addc_co_u32_e32 v5, vcc, v6, v5, vcc
	v_lshlrev_b64 v[0:1], 3, v[0:1]
	v_add_co_u32_e32 v0, vcc, v4, v0
	v_addc_co_u32_e32 v1, vcc, v5, v1, vcc
	global_store_dwordx2 v[0:1], v[2:3], off
.LBB17_6:
	s_endpgm
	.section	.rodata,"a",@progbits
	.p2align	6, 0x0
	.amdhsa_kernel _ZL19rocblas_geam_deviceILi16ELi16EPKdS1_PdEv18rocblas_operation_S3_iiT1_T2_lllS4_S5_lllT3_llli
		.amdhsa_group_segment_fixed_size 0
		.amdhsa_private_segment_fixed_size 0
		.amdhsa_kernarg_size 132
		.amdhsa_user_sgpr_count 6
		.amdhsa_user_sgpr_private_segment_buffer 1
		.amdhsa_user_sgpr_dispatch_ptr 0
		.amdhsa_user_sgpr_queue_ptr 0
		.amdhsa_user_sgpr_kernarg_segment_ptr 1
		.amdhsa_user_sgpr_dispatch_id 0
		.amdhsa_user_sgpr_flat_scratch_init 0
		.amdhsa_user_sgpr_kernarg_preload_length 0
		.amdhsa_user_sgpr_kernarg_preload_offset 0
		.amdhsa_user_sgpr_private_segment_size 0
		.amdhsa_uses_dynamic_stack 0
		.amdhsa_system_sgpr_private_segment_wavefront_offset 0
		.amdhsa_system_sgpr_workgroup_id_x 1
		.amdhsa_system_sgpr_workgroup_id_y 0
		.amdhsa_system_sgpr_workgroup_id_z 1
		.amdhsa_system_sgpr_workgroup_info 0
		.amdhsa_system_vgpr_workitem_id 1
		.amdhsa_next_free_vgpr 12
		.amdhsa_next_free_sgpr 28
		.amdhsa_accum_offset 12
		.amdhsa_reserve_vcc 1
		.amdhsa_reserve_flat_scratch 0
		.amdhsa_float_round_mode_32 0
		.amdhsa_float_round_mode_16_64 0
		.amdhsa_float_denorm_mode_32 3
		.amdhsa_float_denorm_mode_16_64 3
		.amdhsa_dx10_clamp 1
		.amdhsa_ieee_mode 1
		.amdhsa_fp16_overflow 0
		.amdhsa_tg_split 0
		.amdhsa_exception_fp_ieee_invalid_op 0
		.amdhsa_exception_fp_denorm_src 0
		.amdhsa_exception_fp_ieee_div_zero 0
		.amdhsa_exception_fp_ieee_overflow 0
		.amdhsa_exception_fp_ieee_underflow 0
		.amdhsa_exception_fp_ieee_inexact 0
		.amdhsa_exception_int_div_zero 0
	.end_amdhsa_kernel
	.section	.text._ZL19rocblas_geam_deviceILi16ELi16EPKdS1_PdEv18rocblas_operation_S3_iiT1_T2_lllS4_S5_lllT3_llli,"axG",@progbits,_ZL19rocblas_geam_deviceILi16ELi16EPKdS1_PdEv18rocblas_operation_S3_iiT1_T2_lllS4_S5_lllT3_llli,comdat
.Lfunc_end17:
	.size	_ZL19rocblas_geam_deviceILi16ELi16EPKdS1_PdEv18rocblas_operation_S3_iiT1_T2_lllS4_S5_lllT3_llli, .Lfunc_end17-_ZL19rocblas_geam_deviceILi16ELi16EPKdS1_PdEv18rocblas_operation_S3_iiT1_T2_lllS4_S5_lllT3_llli
                                        ; -- End function
	.section	.AMDGPU.csdata,"",@progbits
; Kernel info:
; codeLenInByte = 708
; NumSgprs: 32
; NumVgprs: 12
; NumAgprs: 0
; TotalNumVgprs: 12
; ScratchSize: 0
; MemoryBound: 0
; FloatMode: 240
; IeeeMode: 1
; LDSByteSize: 0 bytes/workgroup (compile time only)
; SGPRBlocks: 3
; VGPRBlocks: 1
; NumSGPRsForWavesPerEU: 32
; NumVGPRsForWavesPerEU: 12
; AccumOffset: 12
; Occupancy: 8
; WaveLimiterHint : 0
; COMPUTE_PGM_RSRC2:SCRATCH_EN: 0
; COMPUTE_PGM_RSRC2:USER_SGPR: 6
; COMPUTE_PGM_RSRC2:TRAP_HANDLER: 0
; COMPUTE_PGM_RSRC2:TGID_X_EN: 1
; COMPUTE_PGM_RSRC2:TGID_Y_EN: 0
; COMPUTE_PGM_RSRC2:TGID_Z_EN: 1
; COMPUTE_PGM_RSRC2:TIDIG_COMP_CNT: 1
; COMPUTE_PGM_RSRC3_GFX90A:ACCUM_OFFSET: 2
; COMPUTE_PGM_RSRC3_GFX90A:TG_SPLIT: 0
	.section	.text._ZL31rocblas_geam_zero_matrix_deviceILi16ELi16EP19rocblas_complex_numIfEEviiT1_llli,"axG",@progbits,_ZL31rocblas_geam_zero_matrix_deviceILi16ELi16EP19rocblas_complex_numIfEEviiT1_llli,comdat
	.globl	_ZL31rocblas_geam_zero_matrix_deviceILi16ELi16EP19rocblas_complex_numIfEEviiT1_llli ; -- Begin function _ZL31rocblas_geam_zero_matrix_deviceILi16ELi16EP19rocblas_complex_numIfEEviiT1_llli
	.p2align	8
	.type	_ZL31rocblas_geam_zero_matrix_deviceILi16ELi16EP19rocblas_complex_numIfEEviiT1_llli,@function
_ZL31rocblas_geam_zero_matrix_deviceILi16ELi16EP19rocblas_complex_numIfEEviiT1_llli: ; @_ZL31rocblas_geam_zero_matrix_deviceILi16ELi16EP19rocblas_complex_numIfEEviiT1_llli
; %bb.0:
	s_load_dwordx2 s[0:1], s[4:5], 0x0
	v_and_b32_e32 v3, 0x3ff, v0
	v_bfe_u32 v0, v0, 10, 10
	s_waitcnt lgkmcnt(0)
	s_add_i32 s2, s0, -1
	s_ashr_i32 s3, s2, 31
	s_lshr_b32 s3, s3, 28
	s_add_i32 s2, s2, s3
	s_ashr_i32 s2, s2, 4
	s_add_i32 s3, s2, 1
	v_cvt_f32_u32_e32 v1, s3
	s_not_b32 s2, s2
	v_rcp_iflag_f32_e32 v1, v1
	v_mul_f32_e32 v1, 0x4f7ffffe, v1
	v_cvt_u32_f32_e32 v1, v1
	v_readfirstlane_b32 s8, v1
	s_mul_i32 s2, s2, s8
	s_mul_hi_u32 s2, s8, s2
	s_add_i32 s8, s8, s2
	s_mul_hi_u32 s2, s6, s8
	s_mul_i32 s8, s2, s3
	s_sub_i32 s8, s6, s8
	s_add_i32 s9, s2, 1
	s_sub_i32 s10, s8, s3
	s_cmp_ge_u32 s8, s3
	s_cselect_b32 s2, s9, s2
	s_cselect_b32 s8, s10, s8
	s_add_i32 s9, s2, 1
	s_cmp_ge_u32 s8, s3
	s_cselect_b32 s2, s9, s2
	s_mul_i32 s3, s2, s3
	v_lshl_add_u32 v2, s2, 4, v0
	s_sub_i32 s2, s6, s3
	v_lshl_add_u32 v0, s2, 4, v3
	v_cmp_gt_i32_e32 vcc, s0, v0
	v_cmp_gt_i32_e64 s[0:1], s1, v2
	s_and_b64 s[0:1], vcc, s[0:1]
	s_and_saveexec_b64 s[2:3], s[0:1]
	s_cbranch_execz .LBB18_2
; %bb.1:
	s_load_dwordx8 s[8:15], s[4:5], 0x8
	v_ashrrev_i32_e32 v3, 31, v2
	v_ashrrev_i32_e32 v1, 31, v0
	v_lshlrev_b64 v[0:1], 3, v[0:1]
	s_waitcnt lgkmcnt(0)
	s_mul_i32 s1, s7, s15
	s_mul_hi_u32 s2, s7, s14
	s_mul_i32 s0, s7, s14
	s_add_i32 s1, s2, s1
	s_lshl_b64 s[0:1], s[0:1], 3
	s_add_u32 s2, s8, s0
	s_addc_u32 s3, s9, s1
	s_lshl_b64 s[0:1], s[10:11], 3
	s_add_u32 s2, s2, s0
	s_addc_u32 s3, s3, s1
	v_mul_lo_u32 v4, v2, s13
	v_mul_lo_u32 v5, v3, s12
	v_mad_u64_u32 v[2:3], s[0:1], v2, s12, 0
	v_add3_u32 v3, v3, v4, v5
	v_lshlrev_b64 v[2:3], 3, v[2:3]
	v_mov_b32_e32 v4, s3
	v_add_co_u32_e32 v2, vcc, s2, v2
	v_addc_co_u32_e32 v3, vcc, v4, v3, vcc
	v_add_co_u32_e32 v0, vcc, v2, v0
	v_mov_b32_e32 v2, 0
	v_addc_co_u32_e32 v1, vcc, v3, v1, vcc
	v_mov_b32_e32 v3, v2
	global_store_dwordx2 v[0:1], v[2:3], off
.LBB18_2:
	s_endpgm
	.section	.rodata,"a",@progbits
	.p2align	6, 0x0
	.amdhsa_kernel _ZL31rocblas_geam_zero_matrix_deviceILi16ELi16EP19rocblas_complex_numIfEEviiT1_llli
		.amdhsa_group_segment_fixed_size 0
		.amdhsa_private_segment_fixed_size 0
		.amdhsa_kernarg_size 44
		.amdhsa_user_sgpr_count 6
		.amdhsa_user_sgpr_private_segment_buffer 1
		.amdhsa_user_sgpr_dispatch_ptr 0
		.amdhsa_user_sgpr_queue_ptr 0
		.amdhsa_user_sgpr_kernarg_segment_ptr 1
		.amdhsa_user_sgpr_dispatch_id 0
		.amdhsa_user_sgpr_flat_scratch_init 0
		.amdhsa_user_sgpr_kernarg_preload_length 0
		.amdhsa_user_sgpr_kernarg_preload_offset 0
		.amdhsa_user_sgpr_private_segment_size 0
		.amdhsa_uses_dynamic_stack 0
		.amdhsa_system_sgpr_private_segment_wavefront_offset 0
		.amdhsa_system_sgpr_workgroup_id_x 1
		.amdhsa_system_sgpr_workgroup_id_y 0
		.amdhsa_system_sgpr_workgroup_id_z 1
		.amdhsa_system_sgpr_workgroup_info 0
		.amdhsa_system_vgpr_workitem_id 1
		.amdhsa_next_free_vgpr 6
		.amdhsa_next_free_sgpr 16
		.amdhsa_accum_offset 8
		.amdhsa_reserve_vcc 1
		.amdhsa_reserve_flat_scratch 0
		.amdhsa_float_round_mode_32 0
		.amdhsa_float_round_mode_16_64 0
		.amdhsa_float_denorm_mode_32 3
		.amdhsa_float_denorm_mode_16_64 3
		.amdhsa_dx10_clamp 1
		.amdhsa_ieee_mode 1
		.amdhsa_fp16_overflow 0
		.amdhsa_tg_split 0
		.amdhsa_exception_fp_ieee_invalid_op 0
		.amdhsa_exception_fp_denorm_src 0
		.amdhsa_exception_fp_ieee_div_zero 0
		.amdhsa_exception_fp_ieee_overflow 0
		.amdhsa_exception_fp_ieee_underflow 0
		.amdhsa_exception_fp_ieee_inexact 0
		.amdhsa_exception_int_div_zero 0
	.end_amdhsa_kernel
	.section	.text._ZL31rocblas_geam_zero_matrix_deviceILi16ELi16EP19rocblas_complex_numIfEEviiT1_llli,"axG",@progbits,_ZL31rocblas_geam_zero_matrix_deviceILi16ELi16EP19rocblas_complex_numIfEEviiT1_llli,comdat
.Lfunc_end18:
	.size	_ZL31rocblas_geam_zero_matrix_deviceILi16ELi16EP19rocblas_complex_numIfEEviiT1_llli, .Lfunc_end18-_ZL31rocblas_geam_zero_matrix_deviceILi16ELi16EP19rocblas_complex_numIfEEviiT1_llli
                                        ; -- End function
	.section	.AMDGPU.csdata,"",@progbits
; Kernel info:
; codeLenInByte = 332
; NumSgprs: 20
; NumVgprs: 6
; NumAgprs: 0
; TotalNumVgprs: 6
; ScratchSize: 0
; MemoryBound: 0
; FloatMode: 240
; IeeeMode: 1
; LDSByteSize: 0 bytes/workgroup (compile time only)
; SGPRBlocks: 2
; VGPRBlocks: 0
; NumSGPRsForWavesPerEU: 20
; NumVGPRsForWavesPerEU: 6
; AccumOffset: 8
; Occupancy: 8
; WaveLimiterHint : 0
; COMPUTE_PGM_RSRC2:SCRATCH_EN: 0
; COMPUTE_PGM_RSRC2:USER_SGPR: 6
; COMPUTE_PGM_RSRC2:TRAP_HANDLER: 0
; COMPUTE_PGM_RSRC2:TGID_X_EN: 1
; COMPUTE_PGM_RSRC2:TGID_Y_EN: 0
; COMPUTE_PGM_RSRC2:TGID_Z_EN: 1
; COMPUTE_PGM_RSRC2:TIDIG_COMP_CNT: 1
; COMPUTE_PGM_RSRC3_GFX90A:ACCUM_OFFSET: 1
; COMPUTE_PGM_RSRC3_GFX90A:TG_SPLIT: 0
	.section	.text._ZL27rocblas_geam_inplace_deviceILi16ELi16E19rocblas_complex_numIfEPKS1_PS1_Ev18rocblas_operation_iiT1_S6_T2_lllT3_llli,"axG",@progbits,_ZL27rocblas_geam_inplace_deviceILi16ELi16E19rocblas_complex_numIfEPKS1_PS1_Ev18rocblas_operation_iiT1_S6_T2_lllT3_llli,comdat
	.globl	_ZL27rocblas_geam_inplace_deviceILi16ELi16E19rocblas_complex_numIfEPKS1_PS1_Ev18rocblas_operation_iiT1_S6_T2_lllT3_llli ; -- Begin function _ZL27rocblas_geam_inplace_deviceILi16ELi16E19rocblas_complex_numIfEPKS1_PS1_Ev18rocblas_operation_iiT1_S6_T2_lllT3_llli
	.p2align	8
	.type	_ZL27rocblas_geam_inplace_deviceILi16ELi16E19rocblas_complex_numIfEPKS1_PS1_Ev18rocblas_operation_iiT1_S6_T2_lllT3_llli,@function
_ZL27rocblas_geam_inplace_deviceILi16ELi16E19rocblas_complex_numIfEPKS1_PS1_Ev18rocblas_operation_iiT1_S6_T2_lllT3_llli: ; @_ZL27rocblas_geam_inplace_deviceILi16ELi16E19rocblas_complex_numIfEPKS1_PS1_Ev18rocblas_operation_iiT1_S6_T2_lllT3_llli
; %bb.0:
	s_load_dwordx4 s[24:27], s[4:5], 0x0
	v_and_b32_e32 v3, 0x3ff, v0
	v_bfe_u32 v0, v0, 10, 10
	s_waitcnt lgkmcnt(0)
	s_add_i32 s0, s25, -1
	s_ashr_i32 s1, s0, 31
	s_lshr_b32 s1, s1, 28
	s_add_i32 s0, s0, s1
	s_ashr_i32 s0, s0, 4
	s_add_i32 s1, s0, 1
	v_cvt_f32_u32_e32 v1, s1
	s_not_b32 s0, s0
	v_rcp_iflag_f32_e32 v1, v1
	v_mul_f32_e32 v1, 0x4f7ffffe, v1
	v_cvt_u32_f32_e32 v1, v1
	v_readfirstlane_b32 s2, v1
	s_mul_i32 s0, s0, s2
	s_mul_hi_u32 s0, s2, s0
	s_add_i32 s2, s2, s0
	s_mul_hi_u32 s0, s6, s2
	s_mul_i32 s2, s0, s1
	s_sub_i32 s2, s6, s2
	s_add_i32 s3, s0, 1
	s_sub_i32 s8, s2, s1
	s_cmp_ge_u32 s2, s1
	s_cselect_b32 s0, s3, s0
	s_cselect_b32 s2, s8, s2
	s_add_i32 s3, s0, 1
	s_cmp_ge_u32 s2, s1
	s_cselect_b32 s0, s3, s0
	s_mul_i32 s1, s0, s1
	v_lshl_add_u32 v2, s0, 4, v0
	s_sub_i32 s0, s6, s1
	v_lshl_add_u32 v4, s0, 4, v3
	v_cmp_gt_i32_e32 vcc, s25, v4
	v_cmp_gt_i32_e64 s[0:1], s26, v2
	s_and_b64 s[0:1], vcc, s[0:1]
	s_and_saveexec_b64 s[2:3], s[0:1]
	s_cbranch_execz .LBB19_11
; %bb.1:
	s_load_dwordx16 s[8:23], s[4:5], 0x20
	s_load_dwordx4 s[0:3], s[4:5], 0xc
	v_ashrrev_i32_e32 v5, 31, v4
	v_ashrrev_i32_e32 v3, 31, v2
	s_waitcnt lgkmcnt(0)
	s_mul_i32 s5, s7, s23
	s_mul_hi_u32 s6, s7, s22
	s_mul_i32 s4, s7, s22
	s_add_i32 s5, s6, s5
	s_lshl_b64 s[4:5], s[4:5], 3
	s_add_u32 s6, s16, s4
	s_addc_u32 s16, s17, s5
	s_lshl_b64 s[4:5], s[18:19], 3
	s_add_u32 s6, s6, s4
	s_addc_u32 s16, s16, s5
	v_mad_u64_u32 v[0:1], s[4:5], v2, s20, v[4:5]
	v_mul_lo_u32 v6, v2, s21
	v_mul_lo_u32 v7, v3, s20
	s_or_b32 s4, s2, s3
	v_add3_u32 v1, v7, v1, v6
	s_and_b32 s17, s4, 0x7fffffff
	s_mov_b64 s[4:5], -1
	s_cmp_lg_u32 s17, 0
	v_lshlrev_b64 v[0:1], 3, v[0:1]
	s_cbranch_scc0 .LBB19_7
; %bb.2:
	s_mul_i32 s4, s7, s15
	s_mul_hi_u32 s5, s7, s14
	s_add_i32 s5, s5, s4
	s_mul_i32 s4, s7, s14
	s_lshl_b64 s[4:5], s[4:5], 3
	s_add_u32 s7, s8, s4
	s_addc_u32 s8, s9, s5
	s_lshl_b64 s[4:5], s[10:11], 3
	s_add_u32 s7, s7, s4
	s_addc_u32 s8, s8, s5
	s_cmpk_eq_i32 s24, 0x6f
	s_cselect_b64 vcc, -1, 0
	v_cndmask_b32_e32 v6, v4, v2, vcc
	v_cndmask_b32_e32 v7, v5, v3, vcc
	;; [unrolled: 1-line block ×4, first 2 shown]
	v_mul_lo_u32 v7, v7, s12
	v_mul_lo_u32 v8, v6, s13
	v_mad_u64_u32 v[4:5], s[4:5], v6, s12, 0
	v_add3_u32 v5, v5, v8, v7
	v_lshlrev_b64 v[4:5], 3, v[4:5]
	v_mov_b32_e32 v6, s8
	v_add_co_u32_e32 v4, vcc, s7, v4
	v_addc_co_u32_e32 v5, vcc, v6, v5, vcc
	v_lshlrev_b64 v[2:3], 3, v[2:3]
	v_add_co_u32_e32 v2, vcc, v4, v2
	v_addc_co_u32_e32 v3, vcc, v5, v3, vcc
	global_load_dwordx2 v[6:7], v[2:3], off
	s_cmpk_eq_i32 s24, 0x71
	s_cselect_b64 s[10:11], -1, 0
	v_cmp_eq_f32_e64 s[4:5], s0, 0
	v_cmp_eq_f32_e64 s[8:9], s1, 0
	v_mov_b32_e32 v3, s16
	v_add_co_u32_e32 v2, vcc, s6, v0
	v_addc_co_u32_e32 v3, vcc, v3, v1, vcc
	s_and_b64 s[4:5], s[4:5], s[8:9]
	s_andn2_b64 vcc, exec, s[4:5]
	s_waitcnt vmcnt(0)
	v_cndmask_b32_e64 v4, v7, -v7, s[10:11]
	v_pk_mul_f32 v[8:9], v[4:5], s[2:3] op_sel_hi:[0,1]
	v_pk_fma_f32 v[4:5], v[6:7], s[2:3], v[8:9] op_sel:[0,0,1] op_sel_hi:[0,1,0] neg_lo:[0,0,1] neg_hi:[0,0,1]
	v_pk_fma_f32 v[6:7], v[6:7], s[2:3], v[8:9] op_sel:[0,0,1] op_sel_hi:[0,1,0]
	s_mov_b64 s[2:3], -1
	s_cbranch_vccz .LBB19_4
; %bb.3:
	global_load_dwordx2 v[8:9], v[2:3], off
	s_mov_b64 s[2:3], 0
	s_waitcnt vmcnt(0)
	v_mul_f32_e32 v5, s1, v9
	v_mul_f32_e32 v6, s0, v9
	v_fma_f32 v5, v8, s0, -v5
	v_fmac_f32_e32 v6, s1, v8
	v_add_f32_e32 v8, v4, v5
	v_add_f32_e32 v9, v7, v6
	global_store_dwordx2 v[2:3], v[8:9], off
.LBB19_4:
	s_andn2_b64 vcc, exec, s[2:3]
	s_cbranch_vccnz .LBB19_6
; %bb.5:
	v_mov_b32_e32 v5, v7
	global_store_dwordx2 v[2:3], v[4:5], off
.LBB19_6:
	s_mov_b64 s[4:5], 0
.LBB19_7:
	s_andn2_b64 vcc, exec, s[4:5]
	s_cbranch_vccnz .LBB19_11
; %bb.8:
	v_cmp_neq_f32_e64 s[2:3], s0, 0
	v_cmp_neq_f32_e64 s[4:5], s1, 0
	s_or_b64 s[2:3], s[2:3], s[4:5]
	s_andn2_b64 vcc, exec, s[2:3]
	v_mov_b32_e32 v2, 0
	v_mov_b32_e32 v3, 0
	s_cbranch_vccnz .LBB19_10
; %bb.9:
	v_mov_b32_e32 v3, s16
	v_add_co_u32_e32 v2, vcc, s6, v0
	v_addc_co_u32_e32 v3, vcc, v3, v1, vcc
	global_load_dwordx2 v[4:5], v[2:3], off
	s_waitcnt vmcnt(0)
	v_pk_mul_f32 v[6:7], v[4:5], s[0:1] op_sel:[1,0]
	v_pk_fma_f32 v[2:3], v[4:5], s[0:1], v[6:7] op_sel:[0,0,1] op_sel_hi:[1,1,0] neg_lo:[0,0,1] neg_hi:[0,0,1]
	v_pk_fma_f32 v[4:5], v[4:5], s[0:1], v[6:7] op_sel:[0,0,1] op_sel_hi:[0,1,0]
	v_mov_b32_e32 v3, v5
.LBB19_10:
	v_mov_b32_e32 v4, s16
	v_add_co_u32_e32 v0, vcc, s6, v0
	v_addc_co_u32_e32 v1, vcc, v4, v1, vcc
	global_store_dwordx2 v[0:1], v[2:3], off
.LBB19_11:
	s_endpgm
	.section	.rodata,"a",@progbits
	.p2align	6, 0x0
	.amdhsa_kernel _ZL27rocblas_geam_inplace_deviceILi16ELi16E19rocblas_complex_numIfEPKS1_PS1_Ev18rocblas_operation_iiT1_S6_T2_lllT3_llli
		.amdhsa_group_segment_fixed_size 0
		.amdhsa_private_segment_fixed_size 0
		.amdhsa_kernarg_size 100
		.amdhsa_user_sgpr_count 6
		.amdhsa_user_sgpr_private_segment_buffer 1
		.amdhsa_user_sgpr_dispatch_ptr 0
		.amdhsa_user_sgpr_queue_ptr 0
		.amdhsa_user_sgpr_kernarg_segment_ptr 1
		.amdhsa_user_sgpr_dispatch_id 0
		.amdhsa_user_sgpr_flat_scratch_init 0
		.amdhsa_user_sgpr_kernarg_preload_length 0
		.amdhsa_user_sgpr_kernarg_preload_offset 0
		.amdhsa_user_sgpr_private_segment_size 0
		.amdhsa_uses_dynamic_stack 0
		.amdhsa_system_sgpr_private_segment_wavefront_offset 0
		.amdhsa_system_sgpr_workgroup_id_x 1
		.amdhsa_system_sgpr_workgroup_id_y 0
		.amdhsa_system_sgpr_workgroup_id_z 1
		.amdhsa_system_sgpr_workgroup_info 0
		.amdhsa_system_vgpr_workitem_id 1
		.amdhsa_next_free_vgpr 10
		.amdhsa_next_free_sgpr 28
		.amdhsa_accum_offset 12
		.amdhsa_reserve_vcc 1
		.amdhsa_reserve_flat_scratch 0
		.amdhsa_float_round_mode_32 0
		.amdhsa_float_round_mode_16_64 0
		.amdhsa_float_denorm_mode_32 3
		.amdhsa_float_denorm_mode_16_64 3
		.amdhsa_dx10_clamp 1
		.amdhsa_ieee_mode 1
		.amdhsa_fp16_overflow 0
		.amdhsa_tg_split 0
		.amdhsa_exception_fp_ieee_invalid_op 0
		.amdhsa_exception_fp_denorm_src 0
		.amdhsa_exception_fp_ieee_div_zero 0
		.amdhsa_exception_fp_ieee_overflow 0
		.amdhsa_exception_fp_ieee_underflow 0
		.amdhsa_exception_fp_ieee_inexact 0
		.amdhsa_exception_int_div_zero 0
	.end_amdhsa_kernel
	.section	.text._ZL27rocblas_geam_inplace_deviceILi16ELi16E19rocblas_complex_numIfEPKS1_PS1_Ev18rocblas_operation_iiT1_S6_T2_lllT3_llli,"axG",@progbits,_ZL27rocblas_geam_inplace_deviceILi16ELi16E19rocblas_complex_numIfEPKS1_PS1_Ev18rocblas_operation_iiT1_S6_T2_lllT3_llli,comdat
.Lfunc_end19:
	.size	_ZL27rocblas_geam_inplace_deviceILi16ELi16E19rocblas_complex_numIfEPKS1_PS1_Ev18rocblas_operation_iiT1_S6_T2_lllT3_llli, .Lfunc_end19-_ZL27rocblas_geam_inplace_deviceILi16ELi16E19rocblas_complex_numIfEPKS1_PS1_Ev18rocblas_operation_iiT1_S6_T2_lllT3_llli
                                        ; -- End function
	.section	.AMDGPU.csdata,"",@progbits
; Kernel info:
; codeLenInByte = 740
; NumSgprs: 32
; NumVgprs: 10
; NumAgprs: 0
; TotalNumVgprs: 10
; ScratchSize: 0
; MemoryBound: 0
; FloatMode: 240
; IeeeMode: 1
; LDSByteSize: 0 bytes/workgroup (compile time only)
; SGPRBlocks: 3
; VGPRBlocks: 1
; NumSGPRsForWavesPerEU: 32
; NumVGPRsForWavesPerEU: 10
; AccumOffset: 12
; Occupancy: 8
; WaveLimiterHint : 0
; COMPUTE_PGM_RSRC2:SCRATCH_EN: 0
; COMPUTE_PGM_RSRC2:USER_SGPR: 6
; COMPUTE_PGM_RSRC2:TRAP_HANDLER: 0
; COMPUTE_PGM_RSRC2:TGID_X_EN: 1
; COMPUTE_PGM_RSRC2:TGID_Y_EN: 0
; COMPUTE_PGM_RSRC2:TGID_Z_EN: 1
; COMPUTE_PGM_RSRC2:TIDIG_COMP_CNT: 1
; COMPUTE_PGM_RSRC3_GFX90A:ACCUM_OFFSET: 2
; COMPUTE_PGM_RSRC3_GFX90A:TG_SPLIT: 0
	.section	.text._ZL27rocblas_geam_inplace_deviceILi16ELi16EPK19rocblas_complex_numIfES3_PS1_Ev18rocblas_operation_iiT1_S6_T2_lllT3_llli,"axG",@progbits,_ZL27rocblas_geam_inplace_deviceILi16ELi16EPK19rocblas_complex_numIfES3_PS1_Ev18rocblas_operation_iiT1_S6_T2_lllT3_llli,comdat
	.globl	_ZL27rocblas_geam_inplace_deviceILi16ELi16EPK19rocblas_complex_numIfES3_PS1_Ev18rocblas_operation_iiT1_S6_T2_lllT3_llli ; -- Begin function _ZL27rocblas_geam_inplace_deviceILi16ELi16EPK19rocblas_complex_numIfES3_PS1_Ev18rocblas_operation_iiT1_S6_T2_lllT3_llli
	.p2align	8
	.type	_ZL27rocblas_geam_inplace_deviceILi16ELi16EPK19rocblas_complex_numIfES3_PS1_Ev18rocblas_operation_iiT1_S6_T2_lllT3_llli,@function
_ZL27rocblas_geam_inplace_deviceILi16ELi16EPK19rocblas_complex_numIfES3_PS1_Ev18rocblas_operation_iiT1_S6_T2_lllT3_llli: ; @_ZL27rocblas_geam_inplace_deviceILi16ELi16EPK19rocblas_complex_numIfES3_PS1_Ev18rocblas_operation_iiT1_S6_T2_lllT3_llli
; %bb.0:
	s_load_dwordx4 s[24:27], s[4:5], 0x0
	v_and_b32_e32 v3, 0x3ff, v0
	v_bfe_u32 v0, v0, 10, 10
	s_waitcnt lgkmcnt(0)
	s_add_i32 s0, s25, -1
	s_ashr_i32 s1, s0, 31
	s_lshr_b32 s1, s1, 28
	s_add_i32 s0, s0, s1
	s_ashr_i32 s0, s0, 4
	s_add_i32 s1, s0, 1
	v_cvt_f32_u32_e32 v1, s1
	s_not_b32 s0, s0
	v_rcp_iflag_f32_e32 v1, v1
	v_mul_f32_e32 v1, 0x4f7ffffe, v1
	v_cvt_u32_f32_e32 v1, v1
	v_readfirstlane_b32 s2, v1
	s_mul_i32 s0, s0, s2
	s_mul_hi_u32 s0, s2, s0
	s_add_i32 s2, s2, s0
	s_mul_hi_u32 s0, s6, s2
	s_mul_i32 s2, s0, s1
	s_sub_i32 s2, s6, s2
	s_add_i32 s3, s0, 1
	s_sub_i32 s8, s2, s1
	s_cmp_ge_u32 s2, s1
	s_cselect_b32 s0, s3, s0
	s_cselect_b32 s2, s8, s2
	s_add_i32 s3, s0, 1
	s_cmp_ge_u32 s2, s1
	s_cselect_b32 s0, s3, s0
	s_mul_i32 s1, s0, s1
	v_lshl_add_u32 v2, s0, 4, v0
	s_sub_i32 s0, s6, s1
	v_lshl_add_u32 v4, s0, 4, v3
	v_cmp_gt_i32_e32 vcc, s25, v4
	v_cmp_gt_i32_e64 s[0:1], s26, v2
	s_and_b64 s[0:1], vcc, s[0:1]
	s_and_saveexec_b64 s[2:3], s[0:1]
	s_cbranch_execz .LBB20_11
; %bb.1:
	s_load_dwordx16 s[8:23], s[4:5], 0x10
	s_load_dwordx4 s[28:31], s[4:5], 0x50
	v_ashrrev_i32_e32 v5, 31, v4
	v_ashrrev_i32_e32 v3, 31, v2
	s_waitcnt lgkmcnt(0)
	s_load_dwordx2 s[0:1], s[8:9], 0x0
	s_load_dwordx2 s[2:3], s[10:11], 0x0
	s_mul_i32 s4, s7, s31
	s_mul_hi_u32 s5, s7, s30
	s_add_i32 s5, s5, s4
	s_mul_i32 s4, s7, s30
	s_lshl_b64 s[4:5], s[4:5], 3
	s_add_u32 s6, s20, s4
	s_addc_u32 s8, s21, s5
	s_lshl_b64 s[4:5], s[22:23], 3
	s_add_u32 s6, s6, s4
	s_addc_u32 s8, s8, s5
	v_mad_u64_u32 v[0:1], s[4:5], v2, s28, v[4:5]
	v_mul_lo_u32 v6, v2, s29
	v_mul_lo_u32 v7, v3, s28
	s_waitcnt lgkmcnt(0)
	s_or_b32 s4, s2, s3
	v_add3_u32 v1, v7, v1, v6
	s_and_b32 s9, s4, 0x7fffffff
	s_mov_b64 s[4:5], -1
	s_cmp_lg_u32 s9, 0
	v_lshlrev_b64 v[0:1], 3, v[0:1]
	s_cbranch_scc0 .LBB20_7
; %bb.2:
	s_mul_i32 s4, s7, s19
	s_mul_hi_u32 s5, s7, s18
	s_add_i32 s5, s5, s4
	s_mul_i32 s4, s7, s18
	s_lshl_b64 s[4:5], s[4:5], 3
	s_add_u32 s7, s12, s4
	s_addc_u32 s9, s13, s5
	s_lshl_b64 s[4:5], s[14:15], 3
	s_add_u32 s7, s7, s4
	s_addc_u32 s9, s9, s5
	s_cmpk_eq_i32 s24, 0x6f
	s_cselect_b64 vcc, -1, 0
	v_cndmask_b32_e32 v6, v4, v2, vcc
	v_cndmask_b32_e32 v7, v5, v3, vcc
	;; [unrolled: 1-line block ×4, first 2 shown]
	v_mul_lo_u32 v7, v7, s16
	v_mul_lo_u32 v8, v6, s17
	v_mad_u64_u32 v[4:5], s[4:5], v6, s16, 0
	v_add3_u32 v5, v5, v8, v7
	v_lshlrev_b64 v[4:5], 3, v[4:5]
	v_mov_b32_e32 v6, s9
	v_add_co_u32_e32 v4, vcc, s7, v4
	v_addc_co_u32_e32 v5, vcc, v6, v5, vcc
	v_lshlrev_b64 v[2:3], 3, v[2:3]
	v_add_co_u32_e32 v2, vcc, v4, v2
	v_addc_co_u32_e32 v3, vcc, v5, v3, vcc
	global_load_dwordx2 v[6:7], v[2:3], off
	s_cmpk_eq_i32 s24, 0x71
	s_cselect_b64 s[12:13], -1, 0
	v_cmp_eq_f32_e64 s[4:5], s0, 0
	v_cmp_eq_f32_e64 s[10:11], s1, 0
	v_mov_b32_e32 v3, s8
	v_add_co_u32_e32 v2, vcc, s6, v0
	v_addc_co_u32_e32 v3, vcc, v3, v1, vcc
	s_and_b64 s[4:5], s[4:5], s[10:11]
	s_andn2_b64 vcc, exec, s[4:5]
	s_waitcnt vmcnt(0)
	v_cndmask_b32_e64 v4, v7, -v7, s[12:13]
	v_pk_mul_f32 v[8:9], v[4:5], s[2:3] op_sel_hi:[0,1]
	v_pk_fma_f32 v[4:5], v[6:7], s[2:3], v[8:9] op_sel:[0,0,1] op_sel_hi:[0,1,0] neg_lo:[0,0,1] neg_hi:[0,0,1]
	v_pk_fma_f32 v[6:7], v[6:7], s[2:3], v[8:9] op_sel:[0,0,1] op_sel_hi:[0,1,0]
	s_mov_b64 s[2:3], -1
	s_cbranch_vccz .LBB20_4
; %bb.3:
	global_load_dwordx2 v[8:9], v[2:3], off
	s_mov_b64 s[2:3], 0
	s_waitcnt vmcnt(0)
	v_mul_f32_e32 v5, s1, v9
	v_mul_f32_e32 v6, s0, v9
	v_fma_f32 v5, v8, s0, -v5
	v_fmac_f32_e32 v6, s1, v8
	v_add_f32_e32 v8, v4, v5
	v_add_f32_e32 v9, v7, v6
	global_store_dwordx2 v[2:3], v[8:9], off
.LBB20_4:
	s_andn2_b64 vcc, exec, s[2:3]
	s_cbranch_vccnz .LBB20_6
; %bb.5:
	v_mov_b32_e32 v5, v7
	global_store_dwordx2 v[2:3], v[4:5], off
.LBB20_6:
	s_mov_b64 s[4:5], 0
.LBB20_7:
	s_andn2_b64 vcc, exec, s[4:5]
	s_cbranch_vccnz .LBB20_11
; %bb.8:
	v_cmp_neq_f32_e64 s[2:3], s0, 0
	v_cmp_neq_f32_e64 s[4:5], s1, 0
	s_or_b64 s[2:3], s[2:3], s[4:5]
	s_andn2_b64 vcc, exec, s[2:3]
	v_mov_b32_e32 v2, 0
	v_mov_b32_e32 v3, 0
	s_cbranch_vccnz .LBB20_10
; %bb.9:
	v_mov_b32_e32 v3, s8
	v_add_co_u32_e32 v2, vcc, s6, v0
	v_addc_co_u32_e32 v3, vcc, v3, v1, vcc
	global_load_dwordx2 v[4:5], v[2:3], off
	s_waitcnt vmcnt(0)
	v_pk_mul_f32 v[6:7], v[4:5], s[0:1] op_sel:[1,0]
	v_pk_fma_f32 v[2:3], v[4:5], s[0:1], v[6:7] op_sel:[0,0,1] op_sel_hi:[1,1,0] neg_lo:[0,0,1] neg_hi:[0,0,1]
	v_pk_fma_f32 v[4:5], v[4:5], s[0:1], v[6:7] op_sel:[0,0,1] op_sel_hi:[0,1,0]
	v_mov_b32_e32 v3, v5
.LBB20_10:
	v_mov_b32_e32 v4, s8
	v_add_co_u32_e32 v0, vcc, s6, v0
	v_addc_co_u32_e32 v1, vcc, v4, v1, vcc
	global_store_dwordx2 v[0:1], v[2:3], off
.LBB20_11:
	s_endpgm
	.section	.rodata,"a",@progbits
	.p2align	6, 0x0
	.amdhsa_kernel _ZL27rocblas_geam_inplace_deviceILi16ELi16EPK19rocblas_complex_numIfES3_PS1_Ev18rocblas_operation_iiT1_S6_T2_lllT3_llli
		.amdhsa_group_segment_fixed_size 0
		.amdhsa_private_segment_fixed_size 0
		.amdhsa_kernarg_size 100
		.amdhsa_user_sgpr_count 6
		.amdhsa_user_sgpr_private_segment_buffer 1
		.amdhsa_user_sgpr_dispatch_ptr 0
		.amdhsa_user_sgpr_queue_ptr 0
		.amdhsa_user_sgpr_kernarg_segment_ptr 1
		.amdhsa_user_sgpr_dispatch_id 0
		.amdhsa_user_sgpr_flat_scratch_init 0
		.amdhsa_user_sgpr_kernarg_preload_length 0
		.amdhsa_user_sgpr_kernarg_preload_offset 0
		.amdhsa_user_sgpr_private_segment_size 0
		.amdhsa_uses_dynamic_stack 0
		.amdhsa_system_sgpr_private_segment_wavefront_offset 0
		.amdhsa_system_sgpr_workgroup_id_x 1
		.amdhsa_system_sgpr_workgroup_id_y 0
		.amdhsa_system_sgpr_workgroup_id_z 1
		.amdhsa_system_sgpr_workgroup_info 0
		.amdhsa_system_vgpr_workitem_id 1
		.amdhsa_next_free_vgpr 10
		.amdhsa_next_free_sgpr 32
		.amdhsa_accum_offset 12
		.amdhsa_reserve_vcc 1
		.amdhsa_reserve_flat_scratch 0
		.amdhsa_float_round_mode_32 0
		.amdhsa_float_round_mode_16_64 0
		.amdhsa_float_denorm_mode_32 3
		.amdhsa_float_denorm_mode_16_64 3
		.amdhsa_dx10_clamp 1
		.amdhsa_ieee_mode 1
		.amdhsa_fp16_overflow 0
		.amdhsa_tg_split 0
		.amdhsa_exception_fp_ieee_invalid_op 0
		.amdhsa_exception_fp_denorm_src 0
		.amdhsa_exception_fp_ieee_div_zero 0
		.amdhsa_exception_fp_ieee_overflow 0
		.amdhsa_exception_fp_ieee_underflow 0
		.amdhsa_exception_fp_ieee_inexact 0
		.amdhsa_exception_int_div_zero 0
	.end_amdhsa_kernel
	.section	.text._ZL27rocblas_geam_inplace_deviceILi16ELi16EPK19rocblas_complex_numIfES3_PS1_Ev18rocblas_operation_iiT1_S6_T2_lllT3_llli,"axG",@progbits,_ZL27rocblas_geam_inplace_deviceILi16ELi16EPK19rocblas_complex_numIfES3_PS1_Ev18rocblas_operation_iiT1_S6_T2_lllT3_llli,comdat
.Lfunc_end20:
	.size	_ZL27rocblas_geam_inplace_deviceILi16ELi16EPK19rocblas_complex_numIfES3_PS1_Ev18rocblas_operation_iiT1_S6_T2_lllT3_llli, .Lfunc_end20-_ZL27rocblas_geam_inplace_deviceILi16ELi16EPK19rocblas_complex_numIfES3_PS1_Ev18rocblas_operation_iiT1_S6_T2_lllT3_llli
                                        ; -- End function
	.section	.AMDGPU.csdata,"",@progbits
; Kernel info:
; codeLenInByte = 760
; NumSgprs: 36
; NumVgprs: 10
; NumAgprs: 0
; TotalNumVgprs: 10
; ScratchSize: 0
; MemoryBound: 0
; FloatMode: 240
; IeeeMode: 1
; LDSByteSize: 0 bytes/workgroup (compile time only)
; SGPRBlocks: 4
; VGPRBlocks: 1
; NumSGPRsForWavesPerEU: 36
; NumVGPRsForWavesPerEU: 10
; AccumOffset: 12
; Occupancy: 8
; WaveLimiterHint : 0
; COMPUTE_PGM_RSRC2:SCRATCH_EN: 0
; COMPUTE_PGM_RSRC2:USER_SGPR: 6
; COMPUTE_PGM_RSRC2:TRAP_HANDLER: 0
; COMPUTE_PGM_RSRC2:TGID_X_EN: 1
; COMPUTE_PGM_RSRC2:TGID_Y_EN: 0
; COMPUTE_PGM_RSRC2:TGID_Z_EN: 1
; COMPUTE_PGM_RSRC2:TIDIG_COMP_CNT: 1
; COMPUTE_PGM_RSRC3_GFX90A:ACCUM_OFFSET: 2
; COMPUTE_PGM_RSRC3_GFX90A:TG_SPLIT: 0
	.section	.text._ZL30rocblas_geam_1D_2matrix_deviceILi256E19rocblas_complex_numIfEPKS1_PS1_EvmT0_T1_llT2_lli,"axG",@progbits,_ZL30rocblas_geam_1D_2matrix_deviceILi256E19rocblas_complex_numIfEPKS1_PS1_EvmT0_T1_llT2_lli,comdat
	.globl	_ZL30rocblas_geam_1D_2matrix_deviceILi256E19rocblas_complex_numIfEPKS1_PS1_EvmT0_T1_llT2_lli ; -- Begin function _ZL30rocblas_geam_1D_2matrix_deviceILi256E19rocblas_complex_numIfEPKS1_PS1_EvmT0_T1_llT2_lli
	.p2align	8
	.type	_ZL30rocblas_geam_1D_2matrix_deviceILi256E19rocblas_complex_numIfEPKS1_PS1_EvmT0_T1_llT2_lli,@function
_ZL30rocblas_geam_1D_2matrix_deviceILi256E19rocblas_complex_numIfEPKS1_PS1_EvmT0_T1_llT2_lli: ; @_ZL30rocblas_geam_1D_2matrix_deviceILi256E19rocblas_complex_numIfEPKS1_PS1_EvmT0_T1_llT2_lli
; %bb.0:
	s_load_dword s2, s[4:5], 0x54
	s_load_dwordx2 s[0:1], s[4:5], 0x0
	v_mov_b32_e32 v1, 0
	v_mov_b32_e32 v2, s6
	s_waitcnt lgkmcnt(0)
	s_and_b32 s2, s2, 0xffff
	v_mad_u64_u32 v[0:1], s[2:3], s2, v2, v[0:1]
	v_cmp_gt_u64_e32 vcc, s[0:1], v[0:1]
	s_and_saveexec_b64 s[0:1], vcc
	s_cbranch_execz .LBB21_5
; %bb.1:
	s_load_dwordx4 s[16:19], s[4:5], 0x30
	s_load_dwordx2 s[0:1], s[4:5], 0x8
	s_load_dwordx8 s[8:15], s[4:5], 0x10
	v_lshlrev_b64 v[0:1], 3, v[0:1]
	s_waitcnt lgkmcnt(0)
	s_mul_i32 s3, s7, s19
	s_mul_hi_u32 s4, s7, s18
	s_mul_i32 s2, s7, s18
	s_add_i32 s3, s4, s3
	s_lshl_b64 s[2:3], s[2:3], 3
	s_add_u32 s4, s14, s2
	s_addc_u32 s5, s15, s3
	s_lshl_b64 s[2:3], s[16:17], 3
	s_add_u32 s4, s4, s2
	s_addc_u32 s5, s5, s3
	s_or_b32 s2, s0, s1
	s_and_b32 s6, s2, 0x7fffffff
	s_mov_b64 s[2:3], -1
	s_cmp_lg_u32 s6, 0
	s_cbranch_scc0 .LBB21_3
; %bb.2:
	s_mul_i32 s2, s7, s13
	s_mul_hi_u32 s3, s7, s12
	s_add_i32 s3, s3, s2
	s_mul_i32 s2, s7, s12
	s_lshl_b64 s[2:3], s[2:3], 3
	s_add_u32 s6, s8, s2
	s_addc_u32 s7, s9, s3
	s_lshl_b64 s[2:3], s[10:11], 3
	s_add_u32 s2, s6, s2
	s_addc_u32 s3, s7, s3
	v_mov_b32_e32 v3, s3
	v_add_co_u32_e32 v2, vcc, s2, v0
	v_addc_co_u32_e32 v3, vcc, v3, v1, vcc
	global_load_dwordx2 v[2:3], v[2:3], off
	v_mov_b32_e32 v5, s5
	v_add_co_u32_e32 v4, vcc, s4, v0
	v_addc_co_u32_e32 v5, vcc, v5, v1, vcc
	s_mov_b64 s[2:3], 0
	s_waitcnt vmcnt(0)
	v_mul_f32_e32 v6, s1, v3
	v_mul_f32_e32 v7, s0, v3
	v_fma_f32 v6, v2, s0, -v6
	v_fmac_f32_e32 v7, s1, v2
	global_store_dwordx2 v[4:5], v[6:7], off
.LBB21_3:
	s_andn2_b64 vcc, exec, s[2:3]
	s_cbranch_vccnz .LBB21_5
; %bb.4:
	v_mov_b32_e32 v2, s5
	v_add_co_u32_e32 v0, vcc, s4, v0
	v_addc_co_u32_e32 v1, vcc, v2, v1, vcc
	v_mov_b32_e32 v2, 0
	v_mov_b32_e32 v3, v2
	global_store_dwordx2 v[0:1], v[2:3], off
.LBB21_5:
	s_endpgm
	.section	.rodata,"a",@progbits
	.p2align	6, 0x0
	.amdhsa_kernel _ZL30rocblas_geam_1D_2matrix_deviceILi256E19rocblas_complex_numIfEPKS1_PS1_EvmT0_T1_llT2_lli
		.amdhsa_group_segment_fixed_size 0
		.amdhsa_private_segment_fixed_size 0
		.amdhsa_kernarg_size 328
		.amdhsa_user_sgpr_count 6
		.amdhsa_user_sgpr_private_segment_buffer 1
		.amdhsa_user_sgpr_dispatch_ptr 0
		.amdhsa_user_sgpr_queue_ptr 0
		.amdhsa_user_sgpr_kernarg_segment_ptr 1
		.amdhsa_user_sgpr_dispatch_id 0
		.amdhsa_user_sgpr_flat_scratch_init 0
		.amdhsa_user_sgpr_kernarg_preload_length 0
		.amdhsa_user_sgpr_kernarg_preload_offset 0
		.amdhsa_user_sgpr_private_segment_size 0
		.amdhsa_uses_dynamic_stack 0
		.amdhsa_system_sgpr_private_segment_wavefront_offset 0
		.amdhsa_system_sgpr_workgroup_id_x 1
		.amdhsa_system_sgpr_workgroup_id_y 0
		.amdhsa_system_sgpr_workgroup_id_z 1
		.amdhsa_system_sgpr_workgroup_info 0
		.amdhsa_system_vgpr_workitem_id 0
		.amdhsa_next_free_vgpr 8
		.amdhsa_next_free_sgpr 20
		.amdhsa_accum_offset 8
		.amdhsa_reserve_vcc 1
		.amdhsa_reserve_flat_scratch 0
		.amdhsa_float_round_mode_32 0
		.amdhsa_float_round_mode_16_64 0
		.amdhsa_float_denorm_mode_32 3
		.amdhsa_float_denorm_mode_16_64 3
		.amdhsa_dx10_clamp 1
		.amdhsa_ieee_mode 1
		.amdhsa_fp16_overflow 0
		.amdhsa_tg_split 0
		.amdhsa_exception_fp_ieee_invalid_op 0
		.amdhsa_exception_fp_denorm_src 0
		.amdhsa_exception_fp_ieee_div_zero 0
		.amdhsa_exception_fp_ieee_overflow 0
		.amdhsa_exception_fp_ieee_underflow 0
		.amdhsa_exception_fp_ieee_inexact 0
		.amdhsa_exception_int_div_zero 0
	.end_amdhsa_kernel
	.section	.text._ZL30rocblas_geam_1D_2matrix_deviceILi256E19rocblas_complex_numIfEPKS1_PS1_EvmT0_T1_llT2_lli,"axG",@progbits,_ZL30rocblas_geam_1D_2matrix_deviceILi256E19rocblas_complex_numIfEPKS1_PS1_EvmT0_T1_llT2_lli,comdat
.Lfunc_end21:
	.size	_ZL30rocblas_geam_1D_2matrix_deviceILi256E19rocblas_complex_numIfEPKS1_PS1_EvmT0_T1_llT2_lli, .Lfunc_end21-_ZL30rocblas_geam_1D_2matrix_deviceILi256E19rocblas_complex_numIfEPKS1_PS1_EvmT0_T1_llT2_lli
                                        ; -- End function
	.section	.AMDGPU.csdata,"",@progbits
; Kernel info:
; codeLenInByte = 304
; NumSgprs: 24
; NumVgprs: 8
; NumAgprs: 0
; TotalNumVgprs: 8
; ScratchSize: 0
; MemoryBound: 0
; FloatMode: 240
; IeeeMode: 1
; LDSByteSize: 0 bytes/workgroup (compile time only)
; SGPRBlocks: 2
; VGPRBlocks: 0
; NumSGPRsForWavesPerEU: 24
; NumVGPRsForWavesPerEU: 8
; AccumOffset: 8
; Occupancy: 8
; WaveLimiterHint : 0
; COMPUTE_PGM_RSRC2:SCRATCH_EN: 0
; COMPUTE_PGM_RSRC2:USER_SGPR: 6
; COMPUTE_PGM_RSRC2:TRAP_HANDLER: 0
; COMPUTE_PGM_RSRC2:TGID_X_EN: 1
; COMPUTE_PGM_RSRC2:TGID_Y_EN: 0
; COMPUTE_PGM_RSRC2:TGID_Z_EN: 1
; COMPUTE_PGM_RSRC2:TIDIG_COMP_CNT: 0
; COMPUTE_PGM_RSRC3_GFX90A:ACCUM_OFFSET: 1
; COMPUTE_PGM_RSRC3_GFX90A:TG_SPLIT: 0
	.section	.text._ZL27rocblas_geam_2matrix_deviceILi16ELi16E19rocblas_complex_numIfEPKS1_PS1_Ev18rocblas_operation_iiT1_T2_lllT3_llli,"axG",@progbits,_ZL27rocblas_geam_2matrix_deviceILi16ELi16E19rocblas_complex_numIfEPKS1_PS1_Ev18rocblas_operation_iiT1_T2_lllT3_llli,comdat
	.globl	_ZL27rocblas_geam_2matrix_deviceILi16ELi16E19rocblas_complex_numIfEPKS1_PS1_Ev18rocblas_operation_iiT1_T2_lllT3_llli ; -- Begin function _ZL27rocblas_geam_2matrix_deviceILi16ELi16E19rocblas_complex_numIfEPKS1_PS1_Ev18rocblas_operation_iiT1_T2_lllT3_llli
	.p2align	8
	.type	_ZL27rocblas_geam_2matrix_deviceILi16ELi16E19rocblas_complex_numIfEPKS1_PS1_Ev18rocblas_operation_iiT1_T2_lllT3_llli,@function
_ZL27rocblas_geam_2matrix_deviceILi16ELi16E19rocblas_complex_numIfEPKS1_PS1_Ev18rocblas_operation_iiT1_T2_lllT3_llli: ; @_ZL27rocblas_geam_2matrix_deviceILi16ELi16E19rocblas_complex_numIfEPKS1_PS1_Ev18rocblas_operation_iiT1_T2_lllT3_llli
; %bb.0:
	s_load_dwordx4 s[24:27], s[4:5], 0x0
	v_and_b32_e32 v3, 0x3ff, v0
	v_bfe_u32 v0, v0, 10, 10
	s_waitcnt lgkmcnt(0)
	s_add_i32 s0, s25, -1
	s_ashr_i32 s1, s0, 31
	s_lshr_b32 s1, s1, 28
	s_add_i32 s0, s0, s1
	s_ashr_i32 s0, s0, 4
	s_add_i32 s1, s0, 1
	v_cvt_f32_u32_e32 v1, s1
	s_not_b32 s0, s0
	v_rcp_iflag_f32_e32 v1, v1
	v_mul_f32_e32 v1, 0x4f7ffffe, v1
	v_cvt_u32_f32_e32 v1, v1
	v_readfirstlane_b32 s2, v1
	s_mul_i32 s0, s0, s2
	s_mul_hi_u32 s0, s2, s0
	s_add_i32 s2, s2, s0
	s_mul_hi_u32 s0, s6, s2
	s_mul_i32 s2, s0, s1
	s_sub_i32 s2, s6, s2
	s_add_i32 s3, s0, 1
	s_sub_i32 s8, s2, s1
	s_cmp_ge_u32 s2, s1
	s_cselect_b32 s0, s3, s0
	s_cselect_b32 s2, s8, s2
	s_add_i32 s3, s0, 1
	s_cmp_ge_u32 s2, s1
	s_cselect_b32 s0, s3, s0
	s_mul_i32 s1, s0, s1
	v_lshl_add_u32 v2, s0, 4, v0
	s_sub_i32 s0, s6, s1
	v_lshl_add_u32 v4, s0, 4, v3
	v_cmp_gt_i32_e32 vcc, s25, v4
	v_cmp_gt_i32_e64 s[0:1], s26, v2
	s_and_b64 s[0:1], vcc, s[0:1]
	s_and_saveexec_b64 s[2:3], s[0:1]
	s_cbranch_execz .LBB22_5
; %bb.1:
	s_load_dwordx16 s[8:23], s[4:5], 0x18
	s_load_dword s1, s[4:5], 0x10
	v_ashrrev_i32_e32 v5, 31, v4
	v_ashrrev_i32_e32 v3, 31, v2
	s_waitcnt lgkmcnt(0)
	s_mul_i32 s0, s7, s23
	s_mul_hi_u32 s3, s7, s22
	s_mul_i32 s2, s7, s22
	s_add_i32 s3, s3, s0
	s_lshl_b64 s[2:3], s[2:3], 3
	s_add_u32 s0, s16, s2
	s_addc_u32 s5, s17, s3
	s_lshl_b64 s[2:3], s[18:19], 3
	s_add_u32 s4, s0, s2
	s_addc_u32 s5, s5, s3
	v_mul_lo_u32 v6, v2, s21
	v_mul_lo_u32 v7, v3, s20
	v_mad_u64_u32 v[0:1], s[2:3], v2, s20, v[4:5]
	s_or_b32 s0, s27, s1
	v_add3_u32 v1, v7, v1, v6
	s_bitset0_b32 s0, 31
	s_mov_b64 s[2:3], -1
	s_cmp_lg_u32 s0, 0
	v_lshlrev_b64 v[0:1], 3, v[0:1]
	s_cbranch_scc0 .LBB22_3
; %bb.2:
	s_mul_i32 s0, s7, s15
	s_mul_hi_u32 s2, s7, s14
	s_add_i32 s3, s2, s0
	s_mul_i32 s2, s7, s14
	s_lshl_b64 s[2:3], s[2:3], 3
	s_add_u32 s0, s8, s2
	s_addc_u32 s6, s9, s3
	s_lshl_b64 s[2:3], s[10:11], 3
	s_add_u32 s0, s0, s2
	s_addc_u32 s6, s6, s3
	s_cmpk_eq_i32 s24, 0x6f
	s_cselect_b64 vcc, -1, 0
	v_cndmask_b32_e32 v6, v4, v2, vcc
	v_cndmask_b32_e32 v7, v5, v3, vcc
	;; [unrolled: 1-line block ×4, first 2 shown]
	v_mul_lo_u32 v7, v7, s12
	v_mul_lo_u32 v8, v6, s13
	v_mad_u64_u32 v[4:5], s[2:3], v6, s12, 0
	v_add3_u32 v5, v5, v8, v7
	v_lshlrev_b64 v[4:5], 3, v[4:5]
	v_mov_b32_e32 v6, s6
	v_add_co_u32_e32 v4, vcc, s0, v4
	v_addc_co_u32_e32 v5, vcc, v6, v5, vcc
	v_lshlrev_b64 v[2:3], 3, v[2:3]
	v_add_co_u32_e32 v2, vcc, v4, v2
	v_addc_co_u32_e32 v3, vcc, v5, v3, vcc
	global_load_dwordx2 v[2:3], v[2:3], off
	s_cmpk_eq_i32 s24, 0x71
	s_cselect_b64 s[2:3], -1, 0
	s_mov_b32 s0, s27
	v_mov_b32_e32 v5, s5
	v_add_co_u32_e32 v4, vcc, s4, v0
	v_addc_co_u32_e32 v5, vcc, v5, v1, vcc
	s_waitcnt vmcnt(0)
	v_cndmask_b32_e64 v6, v3, -v3, s[2:3]
	v_pk_mul_f32 v[6:7], v[6:7], s[0:1] op_sel_hi:[0,1]
	v_pk_fma_f32 v[8:9], v[2:3], s[0:1], v[6:7] op_sel:[0,0,1] op_sel_hi:[1,1,0] neg_lo:[0,0,1] neg_hi:[0,0,1]
	v_pk_fma_f32 v[2:3], v[2:3], s[0:1], v[6:7] op_sel:[0,0,1] op_sel_hi:[0,1,0]
	v_mov_b32_e32 v9, v3
	global_store_dwordx2 v[4:5], v[8:9], off
	s_mov_b64 s[2:3], 0
.LBB22_3:
	s_andn2_b64 vcc, exec, s[2:3]
	s_cbranch_vccnz .LBB22_5
; %bb.4:
	v_mov_b32_e32 v2, s5
	v_add_co_u32_e32 v0, vcc, s4, v0
	v_addc_co_u32_e32 v1, vcc, v2, v1, vcc
	v_mov_b32_e32 v2, 0
	v_mov_b32_e32 v3, v2
	global_store_dwordx2 v[0:1], v[2:3], off
.LBB22_5:
	s_endpgm
	.section	.rodata,"a",@progbits
	.p2align	6, 0x0
	.amdhsa_kernel _ZL27rocblas_geam_2matrix_deviceILi16ELi16E19rocblas_complex_numIfEPKS1_PS1_Ev18rocblas_operation_iiT1_T2_lllT3_llli
		.amdhsa_group_segment_fixed_size 0
		.amdhsa_private_segment_fixed_size 0
		.amdhsa_kernarg_size 92
		.amdhsa_user_sgpr_count 6
		.amdhsa_user_sgpr_private_segment_buffer 1
		.amdhsa_user_sgpr_dispatch_ptr 0
		.amdhsa_user_sgpr_queue_ptr 0
		.amdhsa_user_sgpr_kernarg_segment_ptr 1
		.amdhsa_user_sgpr_dispatch_id 0
		.amdhsa_user_sgpr_flat_scratch_init 0
		.amdhsa_user_sgpr_kernarg_preload_length 0
		.amdhsa_user_sgpr_kernarg_preload_offset 0
		.amdhsa_user_sgpr_private_segment_size 0
		.amdhsa_uses_dynamic_stack 0
		.amdhsa_system_sgpr_private_segment_wavefront_offset 0
		.amdhsa_system_sgpr_workgroup_id_x 1
		.amdhsa_system_sgpr_workgroup_id_y 0
		.amdhsa_system_sgpr_workgroup_id_z 1
		.amdhsa_system_sgpr_workgroup_info 0
		.amdhsa_system_vgpr_workitem_id 1
		.amdhsa_next_free_vgpr 10
		.amdhsa_next_free_sgpr 28
		.amdhsa_accum_offset 12
		.amdhsa_reserve_vcc 1
		.amdhsa_reserve_flat_scratch 0
		.amdhsa_float_round_mode_32 0
		.amdhsa_float_round_mode_16_64 0
		.amdhsa_float_denorm_mode_32 3
		.amdhsa_float_denorm_mode_16_64 3
		.amdhsa_dx10_clamp 1
		.amdhsa_ieee_mode 1
		.amdhsa_fp16_overflow 0
		.amdhsa_tg_split 0
		.amdhsa_exception_fp_ieee_invalid_op 0
		.amdhsa_exception_fp_denorm_src 0
		.amdhsa_exception_fp_ieee_div_zero 0
		.amdhsa_exception_fp_ieee_overflow 0
		.amdhsa_exception_fp_ieee_underflow 0
		.amdhsa_exception_fp_ieee_inexact 0
		.amdhsa_exception_int_div_zero 0
	.end_amdhsa_kernel
	.section	.text._ZL27rocblas_geam_2matrix_deviceILi16ELi16E19rocblas_complex_numIfEPKS1_PS1_Ev18rocblas_operation_iiT1_T2_lllT3_llli,"axG",@progbits,_ZL27rocblas_geam_2matrix_deviceILi16ELi16E19rocblas_complex_numIfEPKS1_PS1_Ev18rocblas_operation_iiT1_T2_lllT3_llli,comdat
.Lfunc_end22:
	.size	_ZL27rocblas_geam_2matrix_deviceILi16ELi16E19rocblas_complex_numIfEPKS1_PS1_Ev18rocblas_operation_iiT1_T2_lllT3_llli, .Lfunc_end22-_ZL27rocblas_geam_2matrix_deviceILi16ELi16E19rocblas_complex_numIfEPKS1_PS1_Ev18rocblas_operation_iiT1_T2_lllT3_llli
                                        ; -- End function
	.section	.AMDGPU.csdata,"",@progbits
; Kernel info:
; codeLenInByte = 568
; NumSgprs: 32
; NumVgprs: 10
; NumAgprs: 0
; TotalNumVgprs: 10
; ScratchSize: 0
; MemoryBound: 0
; FloatMode: 240
; IeeeMode: 1
; LDSByteSize: 0 bytes/workgroup (compile time only)
; SGPRBlocks: 3
; VGPRBlocks: 1
; NumSGPRsForWavesPerEU: 32
; NumVGPRsForWavesPerEU: 10
; AccumOffset: 12
; Occupancy: 8
; WaveLimiterHint : 0
; COMPUTE_PGM_RSRC2:SCRATCH_EN: 0
; COMPUTE_PGM_RSRC2:USER_SGPR: 6
; COMPUTE_PGM_RSRC2:TRAP_HANDLER: 0
; COMPUTE_PGM_RSRC2:TGID_X_EN: 1
; COMPUTE_PGM_RSRC2:TGID_Y_EN: 0
; COMPUTE_PGM_RSRC2:TGID_Z_EN: 1
; COMPUTE_PGM_RSRC2:TIDIG_COMP_CNT: 1
; COMPUTE_PGM_RSRC3_GFX90A:ACCUM_OFFSET: 2
; COMPUTE_PGM_RSRC3_GFX90A:TG_SPLIT: 0
	.section	.text._ZL22rocblas_geam_1D_deviceILi256E19rocblas_complex_numIfEPKS1_PS1_EvmT0_T1_llS5_S6_llT2_lli,"axG",@progbits,_ZL22rocblas_geam_1D_deviceILi256E19rocblas_complex_numIfEPKS1_PS1_EvmT0_T1_llS5_S6_llT2_lli,comdat
	.globl	_ZL22rocblas_geam_1D_deviceILi256E19rocblas_complex_numIfEPKS1_PS1_EvmT0_T1_llS5_S6_llT2_lli ; -- Begin function _ZL22rocblas_geam_1D_deviceILi256E19rocblas_complex_numIfEPKS1_PS1_EvmT0_T1_llS5_S6_llT2_lli
	.p2align	8
	.type	_ZL22rocblas_geam_1D_deviceILi256E19rocblas_complex_numIfEPKS1_PS1_EvmT0_T1_llS5_S6_llT2_lli,@function
_ZL22rocblas_geam_1D_deviceILi256E19rocblas_complex_numIfEPKS1_PS1_EvmT0_T1_llS5_S6_llT2_lli: ; @_ZL22rocblas_geam_1D_deviceILi256E19rocblas_complex_numIfEPKS1_PS1_EvmT0_T1_llS5_S6_llT2_lli
; %bb.0:
	s_load_dword s2, s[4:5], 0x74
	s_load_dwordx2 s[0:1], s[4:5], 0x0
	v_mov_b32_e32 v1, 0
	v_mov_b32_e32 v2, s6
	s_waitcnt lgkmcnt(0)
	s_and_b32 s2, s2, 0xffff
	v_mad_u64_u32 v[0:1], s[2:3], s2, v2, v[0:1]
	v_cmp_gt_u64_e32 vcc, s[0:1], v[0:1]
	s_and_saveexec_b64 s[0:1], vcc
	s_cbranch_execz .LBB23_9
; %bb.1:
	s_load_dwordx4 s[16:19], s[4:5], 0x50
	s_load_dwordx2 s[0:1], s[4:5], 0x8
	s_load_dwordx2 s[2:3], s[4:5], 0x28
	s_load_dwordx8 s[8:15], s[4:5], 0x30
	s_waitcnt lgkmcnt(0)
	s_mul_i32 s6, s7, s19
	s_mul_hi_u32 s19, s7, s18
	s_add_i32 s19, s19, s6
	s_mul_i32 s18, s7, s18
	s_lshl_b64 s[18:19], s[18:19], 3
	s_add_u32 s6, s14, s18
	s_addc_u32 s18, s15, s19
	s_lshl_b64 s[14:15], s[16:17], 3
	s_add_u32 s6, s6, s14
	s_addc_u32 s16, s18, s15
	v_cmp_eq_f32_e64 s[14:15], s0, 0
	v_cmp_eq_f32_e64 s[18:19], s1, 0
	s_and_b64 s[14:15], s[14:15], s[18:19]
	v_cmp_eq_f32_e64 s[18:19], s2, 0
	v_cmp_eq_f32_e64 s[20:21], s3, 0
	s_and_b64 s[18:19], s[18:19], s[20:21]
	s_and_b64 s[14:15], s[14:15], s[18:19]
	s_andn2_b64 vcc, exec, s[14:15]
	s_mov_b64 s[14:15], -1
	s_cbranch_vccz .LBB23_7
; %bb.2:
	v_cmp_neq_f32_e64 s[14:15], s2, 0
	v_cmp_neq_f32_e64 s[18:19], s3, 0
	s_or_b64 s[14:15], s[14:15], s[18:19]
	v_mov_b32_e32 v2, 0
	s_andn2_b64 vcc, exec, s[14:15]
	v_mov_b32_e32 v3, 0
	v_mov_b32_e32 v4, 0
	s_cbranch_vccnz .LBB23_4
; %bb.3:
	s_mul_i32 s13, s7, s13
	s_mul_hi_u32 s14, s7, s12
	s_add_i32 s13, s14, s13
	s_mul_i32 s12, s7, s12
	s_lshl_b64 s[12:13], s[12:13], 3
	s_add_u32 s12, s8, s12
	s_addc_u32 s13, s9, s13
	s_lshl_b64 s[8:9], s[10:11], 3
	s_add_u32 s8, s12, s8
	s_addc_u32 s9, s13, s9
	v_lshlrev_b64 v[4:5], 3, v[0:1]
	v_mov_b32_e32 v3, s9
	v_add_co_u32_e32 v4, vcc, s8, v4
	v_addc_co_u32_e32 v5, vcc, v3, v5, vcc
	global_load_dwordx2 v[4:5], v[4:5], off
	s_waitcnt vmcnt(0)
	v_mul_f32_e32 v3, s2, v4
	v_pk_mul_f32 v[6:7], v[4:5], s[2:3] op_sel:[0,1] op_sel_hi:[1,0]
	v_fma_f32 v4, -v5, s3, v3
	v_add_f32_e32 v3, v6, v7
.LBB23_4:
	v_cmp_neq_f32_e64 s[2:3], s0, 0
	v_cmp_neq_f32_e64 s[8:9], s1, 0
	s_or_b64 s[2:3], s[2:3], s[8:9]
	s_andn2_b64 vcc, exec, s[2:3]
	v_mov_b32_e32 v5, 0
	s_cbranch_vccnz .LBB23_6
; %bb.5:
	s_load_dwordx2 s[2:3], s[4:5], 0x20
	s_load_dwordx4 s[8:11], s[4:5], 0x10
	v_lshlrev_b64 v[6:7], 3, v[0:1]
	s_waitcnt lgkmcnt(0)
	s_mul_i32 s3, s7, s3
	s_mul_hi_u32 s4, s7, s2
	s_mul_i32 s2, s7, s2
	s_add_i32 s3, s4, s3
	s_lshl_b64 s[2:3], s[2:3], 3
	s_add_u32 s4, s8, s2
	s_addc_u32 s5, s9, s3
	s_lshl_b64 s[2:3], s[10:11], 3
	s_add_u32 s2, s4, s2
	s_addc_u32 s3, s5, s3
	v_mov_b32_e32 v2, s3
	v_add_co_u32_e32 v6, vcc, s2, v6
	v_addc_co_u32_e32 v7, vcc, v2, v7, vcc
	global_load_dwordx2 v[6:7], v[6:7], off
	s_waitcnt vmcnt(0)
	v_mul_f32_e32 v2, s0, v6
	v_pk_mul_f32 v[8:9], v[6:7], s[0:1] op_sel:[0,1] op_sel_hi:[1,0]
	v_fma_f32 v5, -v7, s1, v2
	v_add_f32_e32 v2, v8, v9
.LBB23_6:
	v_add_f32_e32 v4, v4, v5
	v_add_f32_e32 v5, v3, v2
	v_lshlrev_b64 v[2:3], 3, v[0:1]
	v_mov_b32_e32 v6, s16
	v_add_co_u32_e32 v2, vcc, s6, v2
	v_addc_co_u32_e32 v3, vcc, v6, v3, vcc
	s_mov_b64 s[14:15], 0
	global_store_dwordx2 v[2:3], v[4:5], off
.LBB23_7:
	s_and_b64 vcc, exec, s[14:15]
	s_cbranch_vccz .LBB23_9
; %bb.8:
	v_lshlrev_b64 v[0:1], 3, v[0:1]
	v_mov_b32_e32 v2, s16
	v_add_co_u32_e32 v0, vcc, s6, v0
	v_addc_co_u32_e32 v1, vcc, v2, v1, vcc
	v_mov_b32_e32 v2, 0
	v_mov_b32_e32 v3, v2
	global_store_dwordx2 v[0:1], v[2:3], off
.LBB23_9:
	s_endpgm
	.section	.rodata,"a",@progbits
	.p2align	6, 0x0
	.amdhsa_kernel _ZL22rocblas_geam_1D_deviceILi256E19rocblas_complex_numIfEPKS1_PS1_EvmT0_T1_llS5_S6_llT2_lli
		.amdhsa_group_segment_fixed_size 0
		.amdhsa_private_segment_fixed_size 0
		.amdhsa_kernarg_size 360
		.amdhsa_user_sgpr_count 6
		.amdhsa_user_sgpr_private_segment_buffer 1
		.amdhsa_user_sgpr_dispatch_ptr 0
		.amdhsa_user_sgpr_queue_ptr 0
		.amdhsa_user_sgpr_kernarg_segment_ptr 1
		.amdhsa_user_sgpr_dispatch_id 0
		.amdhsa_user_sgpr_flat_scratch_init 0
		.amdhsa_user_sgpr_kernarg_preload_length 0
		.amdhsa_user_sgpr_kernarg_preload_offset 0
		.amdhsa_user_sgpr_private_segment_size 0
		.amdhsa_uses_dynamic_stack 0
		.amdhsa_system_sgpr_private_segment_wavefront_offset 0
		.amdhsa_system_sgpr_workgroup_id_x 1
		.amdhsa_system_sgpr_workgroup_id_y 0
		.amdhsa_system_sgpr_workgroup_id_z 1
		.amdhsa_system_sgpr_workgroup_info 0
		.amdhsa_system_vgpr_workitem_id 0
		.amdhsa_next_free_vgpr 10
		.amdhsa_next_free_sgpr 22
		.amdhsa_accum_offset 12
		.amdhsa_reserve_vcc 1
		.amdhsa_reserve_flat_scratch 0
		.amdhsa_float_round_mode_32 0
		.amdhsa_float_round_mode_16_64 0
		.amdhsa_float_denorm_mode_32 3
		.amdhsa_float_denorm_mode_16_64 3
		.amdhsa_dx10_clamp 1
		.amdhsa_ieee_mode 1
		.amdhsa_fp16_overflow 0
		.amdhsa_tg_split 0
		.amdhsa_exception_fp_ieee_invalid_op 0
		.amdhsa_exception_fp_denorm_src 0
		.amdhsa_exception_fp_ieee_div_zero 0
		.amdhsa_exception_fp_ieee_overflow 0
		.amdhsa_exception_fp_ieee_underflow 0
		.amdhsa_exception_fp_ieee_inexact 0
		.amdhsa_exception_int_div_zero 0
	.end_amdhsa_kernel
	.section	.text._ZL22rocblas_geam_1D_deviceILi256E19rocblas_complex_numIfEPKS1_PS1_EvmT0_T1_llS5_S6_llT2_lli,"axG",@progbits,_ZL22rocblas_geam_1D_deviceILi256E19rocblas_complex_numIfEPKS1_PS1_EvmT0_T1_llS5_S6_llT2_lli,comdat
.Lfunc_end23:
	.size	_ZL22rocblas_geam_1D_deviceILi256E19rocblas_complex_numIfEPKS1_PS1_EvmT0_T1_llS5_S6_llT2_lli, .Lfunc_end23-_ZL22rocblas_geam_1D_deviceILi256E19rocblas_complex_numIfEPKS1_PS1_EvmT0_T1_llS5_S6_llT2_lli
                                        ; -- End function
	.section	.AMDGPU.csdata,"",@progbits
; Kernel info:
; codeLenInByte = 560
; NumSgprs: 26
; NumVgprs: 10
; NumAgprs: 0
; TotalNumVgprs: 10
; ScratchSize: 0
; MemoryBound: 0
; FloatMode: 240
; IeeeMode: 1
; LDSByteSize: 0 bytes/workgroup (compile time only)
; SGPRBlocks: 3
; VGPRBlocks: 1
; NumSGPRsForWavesPerEU: 26
; NumVGPRsForWavesPerEU: 10
; AccumOffset: 12
; Occupancy: 8
; WaveLimiterHint : 0
; COMPUTE_PGM_RSRC2:SCRATCH_EN: 0
; COMPUTE_PGM_RSRC2:USER_SGPR: 6
; COMPUTE_PGM_RSRC2:TRAP_HANDLER: 0
; COMPUTE_PGM_RSRC2:TGID_X_EN: 1
; COMPUTE_PGM_RSRC2:TGID_Y_EN: 0
; COMPUTE_PGM_RSRC2:TGID_Z_EN: 1
; COMPUTE_PGM_RSRC2:TIDIG_COMP_CNT: 0
; COMPUTE_PGM_RSRC3_GFX90A:ACCUM_OFFSET: 2
; COMPUTE_PGM_RSRC3_GFX90A:TG_SPLIT: 0
	.section	.text._ZL22rocblas_geam_1D_deviceILi256EPK19rocblas_complex_numIfES3_PS1_EvmT0_T1_llS5_S6_llT2_lli,"axG",@progbits,_ZL22rocblas_geam_1D_deviceILi256EPK19rocblas_complex_numIfES3_PS1_EvmT0_T1_llS5_S6_llT2_lli,comdat
	.globl	_ZL22rocblas_geam_1D_deviceILi256EPK19rocblas_complex_numIfES3_PS1_EvmT0_T1_llS5_S6_llT2_lli ; -- Begin function _ZL22rocblas_geam_1D_deviceILi256EPK19rocblas_complex_numIfES3_PS1_EvmT0_T1_llS5_S6_llT2_lli
	.p2align	8
	.type	_ZL22rocblas_geam_1D_deviceILi256EPK19rocblas_complex_numIfES3_PS1_EvmT0_T1_llS5_S6_llT2_lli,@function
_ZL22rocblas_geam_1D_deviceILi256EPK19rocblas_complex_numIfES3_PS1_EvmT0_T1_llS5_S6_llT2_lli: ; @_ZL22rocblas_geam_1D_deviceILi256EPK19rocblas_complex_numIfES3_PS1_EvmT0_T1_llS5_S6_llT2_lli
; %bb.0:
	s_load_dword s0, s[4:5], 0x74
	s_load_dwordx16 s[8:23], s[4:5], 0x0
	v_mov_b32_e32 v1, 0
	v_mov_b32_e32 v2, s6
	s_waitcnt lgkmcnt(0)
	s_and_b32 s0, s0, 0xffff
	v_mad_u64_u32 v[0:1], s[0:1], s0, v2, v[0:1]
	v_cmp_gt_u64_e32 vcc, s[8:9], v[0:1]
	s_and_saveexec_b64 s[0:1], vcc
	s_cbranch_execz .LBB24_9
; %bb.1:
	s_load_dwordx8 s[24:31], s[4:5], 0x40
	s_load_dwordx2 s[0:1], s[10:11], 0x0
	s_load_dwordx2 s[2:3], s[18:19], 0x0
	s_waitcnt lgkmcnt(0)
	s_mul_i32 s5, s7, s31
	s_mul_hi_u32 s6, s7, s30
	s_mul_i32 s4, s7, s30
	s_add_i32 s5, s6, s5
	s_lshl_b64 s[4:5], s[4:5], 3
	s_add_u32 s6, s26, s4
	s_addc_u32 s8, s27, s5
	s_lshl_b64 s[4:5], s[28:29], 3
	s_add_u32 s6, s6, s4
	s_addc_u32 s8, s8, s5
	v_cmp_eq_f32_e64 s[4:5], s0, 0
	v_cmp_eq_f32_e64 s[10:11], s1, 0
	s_and_b64 s[4:5], s[4:5], s[10:11]
	v_cmp_eq_f32_e64 s[10:11], s2, 0
	v_cmp_eq_f32_e64 s[18:19], s3, 0
	s_and_b64 s[10:11], s[10:11], s[18:19]
	s_and_b64 s[4:5], s[4:5], s[10:11]
	s_andn2_b64 vcc, exec, s[4:5]
	s_mov_b64 s[4:5], -1
	s_cbranch_vccz .LBB24_7
; %bb.2:
	v_cmp_neq_f32_e64 s[4:5], s2, 0
	v_cmp_neq_f32_e64 s[10:11], s3, 0
	s_or_b64 s[4:5], s[4:5], s[10:11]
	v_mov_b32_e32 v2, 0
	s_andn2_b64 vcc, exec, s[4:5]
	v_mov_b32_e32 v3, 0
	v_mov_b32_e32 v4, 0
	s_cbranch_vccnz .LBB24_4
; %bb.3:
	s_mul_i32 s4, s7, s25
	s_mul_hi_u32 s5, s7, s24
	s_add_i32 s5, s5, s4
	s_mul_i32 s4, s7, s24
	s_lshl_b64 s[4:5], s[4:5], 3
	s_add_u32 s9, s20, s4
	s_addc_u32 s10, s21, s5
	s_lshl_b64 s[4:5], s[22:23], 3
	s_add_u32 s4, s9, s4
	s_addc_u32 s5, s10, s5
	v_lshlrev_b64 v[4:5], 3, v[0:1]
	v_mov_b32_e32 v3, s5
	v_add_co_u32_e32 v4, vcc, s4, v4
	v_addc_co_u32_e32 v5, vcc, v3, v5, vcc
	global_load_dwordx2 v[4:5], v[4:5], off
	s_waitcnt vmcnt(0)
	v_mul_f32_e32 v3, s2, v4
	v_pk_mul_f32 v[6:7], v[4:5], s[2:3] op_sel:[0,1] op_sel_hi:[1,0]
	v_fma_f32 v4, -v5, s3, v3
	v_add_f32_e32 v3, v6, v7
.LBB24_4:
	v_cmp_neq_f32_e64 s[2:3], s0, 0
	v_cmp_neq_f32_e64 s[4:5], s1, 0
	s_or_b64 s[2:3], s[2:3], s[4:5]
	s_andn2_b64 vcc, exec, s[2:3]
	v_mov_b32_e32 v5, 0
	s_cbranch_vccnz .LBB24_6
; %bb.5:
	s_mul_i32 s2, s7, s17
	s_mul_hi_u32 s3, s7, s16
	s_add_i32 s3, s3, s2
	s_mul_i32 s2, s7, s16
	s_lshl_b64 s[2:3], s[2:3], 3
	s_add_u32 s4, s12, s2
	s_addc_u32 s5, s13, s3
	s_lshl_b64 s[2:3], s[14:15], 3
	s_add_u32 s2, s4, s2
	s_addc_u32 s3, s5, s3
	v_lshlrev_b64 v[6:7], 3, v[0:1]
	v_mov_b32_e32 v2, s3
	v_add_co_u32_e32 v6, vcc, s2, v6
	v_addc_co_u32_e32 v7, vcc, v2, v7, vcc
	global_load_dwordx2 v[6:7], v[6:7], off
	s_waitcnt vmcnt(0)
	v_mul_f32_e32 v2, s0, v6
	v_pk_mul_f32 v[8:9], v[6:7], s[0:1] op_sel:[0,1] op_sel_hi:[1,0]
	v_fma_f32 v5, -v7, s1, v2
	v_add_f32_e32 v2, v8, v9
.LBB24_6:
	v_add_f32_e32 v4, v4, v5
	v_add_f32_e32 v5, v3, v2
	v_lshlrev_b64 v[2:3], 3, v[0:1]
	v_mov_b32_e32 v6, s8
	v_add_co_u32_e32 v2, vcc, s6, v2
	v_addc_co_u32_e32 v3, vcc, v6, v3, vcc
	s_mov_b64 s[4:5], 0
	global_store_dwordx2 v[2:3], v[4:5], off
.LBB24_7:
	s_and_b64 vcc, exec, s[4:5]
	s_cbranch_vccz .LBB24_9
; %bb.8:
	v_lshlrev_b64 v[0:1], 3, v[0:1]
	v_mov_b32_e32 v2, s8
	v_add_co_u32_e32 v0, vcc, s6, v0
	v_addc_co_u32_e32 v1, vcc, v2, v1, vcc
	v_mov_b32_e32 v2, 0
	v_mov_b32_e32 v3, v2
	global_store_dwordx2 v[0:1], v[2:3], off
.LBB24_9:
	s_endpgm
	.section	.rodata,"a",@progbits
	.p2align	6, 0x0
	.amdhsa_kernel _ZL22rocblas_geam_1D_deviceILi256EPK19rocblas_complex_numIfES3_PS1_EvmT0_T1_llS5_S6_llT2_lli
		.amdhsa_group_segment_fixed_size 0
		.amdhsa_private_segment_fixed_size 0
		.amdhsa_kernarg_size 360
		.amdhsa_user_sgpr_count 6
		.amdhsa_user_sgpr_private_segment_buffer 1
		.amdhsa_user_sgpr_dispatch_ptr 0
		.amdhsa_user_sgpr_queue_ptr 0
		.amdhsa_user_sgpr_kernarg_segment_ptr 1
		.amdhsa_user_sgpr_dispatch_id 0
		.amdhsa_user_sgpr_flat_scratch_init 0
		.amdhsa_user_sgpr_kernarg_preload_length 0
		.amdhsa_user_sgpr_kernarg_preload_offset 0
		.amdhsa_user_sgpr_private_segment_size 0
		.amdhsa_uses_dynamic_stack 0
		.amdhsa_system_sgpr_private_segment_wavefront_offset 0
		.amdhsa_system_sgpr_workgroup_id_x 1
		.amdhsa_system_sgpr_workgroup_id_y 0
		.amdhsa_system_sgpr_workgroup_id_z 1
		.amdhsa_system_sgpr_workgroup_info 0
		.amdhsa_system_vgpr_workitem_id 0
		.amdhsa_next_free_vgpr 10
		.amdhsa_next_free_sgpr 32
		.amdhsa_accum_offset 12
		.amdhsa_reserve_vcc 1
		.amdhsa_reserve_flat_scratch 0
		.amdhsa_float_round_mode_32 0
		.amdhsa_float_round_mode_16_64 0
		.amdhsa_float_denorm_mode_32 3
		.amdhsa_float_denorm_mode_16_64 3
		.amdhsa_dx10_clamp 1
		.amdhsa_ieee_mode 1
		.amdhsa_fp16_overflow 0
		.amdhsa_tg_split 0
		.amdhsa_exception_fp_ieee_invalid_op 0
		.amdhsa_exception_fp_denorm_src 0
		.amdhsa_exception_fp_ieee_div_zero 0
		.amdhsa_exception_fp_ieee_overflow 0
		.amdhsa_exception_fp_ieee_underflow 0
		.amdhsa_exception_fp_ieee_inexact 0
		.amdhsa_exception_int_div_zero 0
	.end_amdhsa_kernel
	.section	.text._ZL22rocblas_geam_1D_deviceILi256EPK19rocblas_complex_numIfES3_PS1_EvmT0_T1_llS5_S6_llT2_lli,"axG",@progbits,_ZL22rocblas_geam_1D_deviceILi256EPK19rocblas_complex_numIfES3_PS1_EvmT0_T1_llS5_S6_llT2_lli,comdat
.Lfunc_end24:
	.size	_ZL22rocblas_geam_1D_deviceILi256EPK19rocblas_complex_numIfES3_PS1_EvmT0_T1_llS5_S6_llT2_lli, .Lfunc_end24-_ZL22rocblas_geam_1D_deviceILi256EPK19rocblas_complex_numIfES3_PS1_EvmT0_T1_llS5_S6_llT2_lli
                                        ; -- End function
	.section	.AMDGPU.csdata,"",@progbits
; Kernel info:
; codeLenInByte = 532
; NumSgprs: 36
; NumVgprs: 10
; NumAgprs: 0
; TotalNumVgprs: 10
; ScratchSize: 0
; MemoryBound: 0
; FloatMode: 240
; IeeeMode: 1
; LDSByteSize: 0 bytes/workgroup (compile time only)
; SGPRBlocks: 4
; VGPRBlocks: 1
; NumSGPRsForWavesPerEU: 36
; NumVGPRsForWavesPerEU: 10
; AccumOffset: 12
; Occupancy: 8
; WaveLimiterHint : 0
; COMPUTE_PGM_RSRC2:SCRATCH_EN: 0
; COMPUTE_PGM_RSRC2:USER_SGPR: 6
; COMPUTE_PGM_RSRC2:TRAP_HANDLER: 0
; COMPUTE_PGM_RSRC2:TGID_X_EN: 1
; COMPUTE_PGM_RSRC2:TGID_Y_EN: 0
; COMPUTE_PGM_RSRC2:TGID_Z_EN: 1
; COMPUTE_PGM_RSRC2:TIDIG_COMP_CNT: 0
; COMPUTE_PGM_RSRC3_GFX90A:ACCUM_OFFSET: 2
; COMPUTE_PGM_RSRC3_GFX90A:TG_SPLIT: 0
	.section	.text._ZL19rocblas_geam_deviceILi16ELi16E19rocblas_complex_numIfEPKS1_PS1_Ev18rocblas_operation_S5_iiT1_T2_lllS6_S7_lllT3_llli,"axG",@progbits,_ZL19rocblas_geam_deviceILi16ELi16E19rocblas_complex_numIfEPKS1_PS1_Ev18rocblas_operation_S5_iiT1_T2_lllS6_S7_lllT3_llli,comdat
	.globl	_ZL19rocblas_geam_deviceILi16ELi16E19rocblas_complex_numIfEPKS1_PS1_Ev18rocblas_operation_S5_iiT1_T2_lllS6_S7_lllT3_llli ; -- Begin function _ZL19rocblas_geam_deviceILi16ELi16E19rocblas_complex_numIfEPKS1_PS1_Ev18rocblas_operation_S5_iiT1_T2_lllS6_S7_lllT3_llli
	.p2align	8
	.type	_ZL19rocblas_geam_deviceILi16ELi16E19rocblas_complex_numIfEPKS1_PS1_Ev18rocblas_operation_S5_iiT1_T2_lllS6_S7_lllT3_llli,@function
_ZL19rocblas_geam_deviceILi16ELi16E19rocblas_complex_numIfEPKS1_PS1_Ev18rocblas_operation_S5_iiT1_T2_lllS6_S7_lllT3_llli: ; @_ZL19rocblas_geam_deviceILi16ELi16E19rocblas_complex_numIfEPKS1_PS1_Ev18rocblas_operation_S5_iiT1_T2_lllS6_S7_lllT3_llli
; %bb.0:
	s_load_dwordx4 s[24:27], s[4:5], 0x0
	v_and_b32_e32 v2, 0x3ff, v0
	v_bfe_u32 v0, v0, 10, 10
	s_waitcnt lgkmcnt(0)
	s_add_i32 s0, s26, -1
	s_ashr_i32 s1, s0, 31
	s_lshr_b32 s1, s1, 28
	s_add_i32 s0, s0, s1
	s_ashr_i32 s0, s0, 4
	s_add_i32 s1, s0, 1
	v_cvt_f32_u32_e32 v1, s1
	s_not_b32 s0, s0
	v_rcp_iflag_f32_e32 v1, v1
	v_mul_f32_e32 v1, 0x4f7ffffe, v1
	v_cvt_u32_f32_e32 v1, v1
	v_readfirstlane_b32 s2, v1
	s_mul_i32 s0, s0, s2
	s_mul_hi_u32 s0, s2, s0
	s_add_i32 s2, s2, s0
	s_mul_hi_u32 s0, s6, s2
	s_mul_i32 s2, s0, s1
	s_sub_i32 s2, s6, s2
	s_add_i32 s3, s0, 1
	s_sub_i32 s8, s2, s1
	s_cmp_ge_u32 s2, s1
	s_cselect_b32 s0, s3, s0
	s_cselect_b32 s2, s8, s2
	s_add_i32 s3, s0, 1
	s_cmp_ge_u32 s2, s1
	s_cselect_b32 s0, s3, s0
	s_mul_i32 s1, s0, s1
	v_lshl_add_u32 v6, s0, 4, v0
	s_sub_i32 s0, s6, s1
	v_lshl_add_u32 v0, s0, 4, v2
	v_cmp_gt_i32_e32 vcc, s26, v0
	v_cmp_gt_i32_e64 s[0:1], s27, v6
	s_and_b64 s[0:1], vcc, s[0:1]
	s_and_saveexec_b64 s[2:3], s[0:1]
	s_cbranch_execz .LBB25_6
; %bb.1:
	s_load_dwordx2 s[0:1], s[4:5], 0x10
	s_load_dwordx2 s[2:3], s[4:5], 0x38
	v_ashrrev_i32_e32 v1, 31, v0
	v_ashrrev_i32_e32 v7, 31, v6
	v_mov_b32_e32 v4, 0
	s_waitcnt lgkmcnt(0)
	s_or_b32 s6, s0, s1
	s_bitset0_b32 s6, 31
	s_cmp_eq_u32 s6, 0
	v_mov_b32_e32 v2, 0
	v_mov_b32_e32 v3, 0
	s_cbranch_scc1 .LBB25_3
; %bb.2:
	s_load_dwordx8 s[8:15], s[4:5], 0x18
	s_cmpk_eq_i32 s24, 0x6f
	s_cselect_b64 vcc, -1, 0
	v_cndmask_b32_e32 v2, v0, v6, vcc
	v_cndmask_b32_e32 v3, v1, v7, vcc
	s_waitcnt lgkmcnt(0)
	v_mul_lo_u32 v5, v3, s12
	v_mul_lo_u32 v8, v2, s13
	v_mad_u64_u32 v[2:3], s[12:13], v2, s12, 0
	s_mul_i32 s6, s7, s15
	s_mul_hi_u32 s12, s7, s14
	s_add_i32 s13, s12, s6
	s_mul_i32 s12, s7, s14
	s_lshl_b64 s[12:13], s[12:13], 3
	s_add_u32 s6, s8, s12
	s_addc_u32 s12, s9, s13
	s_lshl_b64 s[8:9], s[10:11], 3
	v_add3_u32 v3, v3, v8, v5
	s_add_u32 s6, s6, s8
	s_addc_u32 s8, s12, s9
	v_lshlrev_b64 v[2:3], 3, v[2:3]
	v_cndmask_b32_e32 v9, v7, v1, vcc
	v_cndmask_b32_e32 v8, v6, v0, vcc
	v_mov_b32_e32 v5, s8
	v_add_co_u32_e32 v10, vcc, s6, v2
	v_addc_co_u32_e32 v5, vcc, v5, v3, vcc
	v_lshlrev_b64 v[2:3], 3, v[8:9]
	v_add_co_u32_e32 v2, vcc, v10, v2
	v_addc_co_u32_e32 v3, vcc, v5, v3, vcc
	global_load_dwordx2 v[2:3], v[2:3], off
.LBB25_3:
	s_load_dwordx16 s[8:23], s[4:5], 0x40
	s_or_b32 s4, s2, s3
	s_bitset0_b32 s4, 31
	s_cmp_eq_u32 s4, 0
	v_mov_b32_e32 v5, 0
	s_cbranch_scc1 .LBB25_5
; %bb.4:
	s_waitcnt lgkmcnt(0)
	s_mul_i32 s4, s7, s15
	s_mul_hi_u32 s5, s7, s14
	s_add_i32 s5, s5, s4
	s_mul_i32 s4, s7, s14
	s_lshl_b64 s[4:5], s[4:5], 3
	s_add_u32 s6, s8, s4
	s_addc_u32 s8, s9, s5
	s_lshl_b64 s[4:5], s[10:11], 3
	s_add_u32 s6, s6, s4
	s_addc_u32 s8, s8, s5
	s_cmpk_eq_i32 s25, 0x6f
	s_cselect_b64 vcc, -1, 0
	v_cndmask_b32_e32 v8, v0, v6, vcc
	v_cndmask_b32_e32 v9, v1, v7, vcc
	v_mul_lo_u32 v10, v9, s12
	v_mul_lo_u32 v11, v8, s13
	v_mad_u64_u32 v[8:9], s[4:5], v8, s12, 0
	v_add3_u32 v9, v9, v11, v10
	v_lshlrev_b64 v[8:9], 3, v[8:9]
	v_cndmask_b32_e32 v5, v7, v1, vcc
	v_cndmask_b32_e32 v4, v6, v0, vcc
	v_mov_b32_e32 v10, s8
	v_add_co_u32_e32 v8, vcc, s6, v8
	v_addc_co_u32_e32 v9, vcc, v10, v9, vcc
	v_lshlrev_b64 v[4:5], 3, v[4:5]
	v_add_co_u32_e32 v4, vcc, v8, v4
	v_addc_co_u32_e32 v5, vcc, v9, v5, vcc
	global_load_dwordx2 v[4:5], v[4:5], off
.LBB25_5:
	s_waitcnt lgkmcnt(0)
	s_mul_i32 s4, s7, s23
	s_mul_hi_u32 s5, s7, s22
	s_add_i32 s5, s5, s4
	s_mul_i32 s4, s7, s22
	s_lshl_b64 s[4:5], s[4:5], 3
	s_add_u32 s6, s16, s4
	s_addc_u32 s7, s17, s5
	s_lshl_b64 s[4:5], s[18:19], 3
	s_add_u32 s6, s6, s4
	s_addc_u32 s7, s7, s5
	v_mul_lo_u32 v8, v7, s20
	v_mul_lo_u32 v9, v6, s21
	v_mad_u64_u32 v[6:7], s[4:5], v6, s20, 0
	s_cmpk_eq_i32 s24, 0x71
	v_add3_u32 v7, v7, v9, v8
	s_cselect_b64 s[4:5], -1, 0
	s_cmpk_eq_i32 s25, 0x71
	s_waitcnt vmcnt(0)
	v_cndmask_b32_e64 v8, v3, -v3, s[4:5]
	s_cselect_b64 s[4:5], -1, 0
	v_lshlrev_b64 v[6:7], 3, v[6:7]
	v_cndmask_b32_e64 v10, v5, -v5, s[4:5]
	v_mov_b32_e32 v3, s7
	v_add_co_u32_e32 v5, vcc, s6, v6
	v_addc_co_u32_e32 v3, vcc, v3, v7, vcc
	v_lshlrev_b64 v[0:1], 3, v[0:1]
	v_pk_mul_f32 v[6:7], v[10:11], s[2:3] op_sel_hi:[0,1]
	v_add_co_u32_e32 v0, vcc, v5, v0
	v_pk_fma_f32 v[10:11], v[4:5], s[2:3], v[6:7] op_sel:[0,0,1] op_sel_hi:[1,1,0] neg_lo:[0,0,1] neg_hi:[0,0,1]
	v_pk_fma_f32 v[4:5], v[4:5], s[2:3], v[6:7] op_sel:[0,0,1] op_sel_hi:[0,1,0]
	v_mov_b32_e32 v11, v5
	v_pk_mul_f32 v[4:5], v[8:9], s[0:1] op_sel_hi:[0,1]
	v_addc_co_u32_e32 v1, vcc, v3, v1, vcc
	v_pk_fma_f32 v[6:7], v[2:3], s[0:1], v[4:5] op_sel:[0,0,1] op_sel_hi:[1,1,0] neg_lo:[0,0,1] neg_hi:[0,0,1]
	v_pk_fma_f32 v[2:3], v[2:3], s[0:1], v[4:5] op_sel:[0,0,1] op_sel_hi:[0,1,0]
	v_mov_b32_e32 v7, v3
	v_pk_add_f32 v[2:3], v[6:7], v[10:11]
	global_store_dwordx2 v[0:1], v[2:3], off
.LBB25_6:
	s_endpgm
	.section	.rodata,"a",@progbits
	.p2align	6, 0x0
	.amdhsa_kernel _ZL19rocblas_geam_deviceILi16ELi16E19rocblas_complex_numIfEPKS1_PS1_Ev18rocblas_operation_S5_iiT1_T2_lllS6_S7_lllT3_llli
		.amdhsa_group_segment_fixed_size 0
		.amdhsa_private_segment_fixed_size 0
		.amdhsa_kernarg_size 132
		.amdhsa_user_sgpr_count 6
		.amdhsa_user_sgpr_private_segment_buffer 1
		.amdhsa_user_sgpr_dispatch_ptr 0
		.amdhsa_user_sgpr_queue_ptr 0
		.amdhsa_user_sgpr_kernarg_segment_ptr 1
		.amdhsa_user_sgpr_dispatch_id 0
		.amdhsa_user_sgpr_flat_scratch_init 0
		.amdhsa_user_sgpr_kernarg_preload_length 0
		.amdhsa_user_sgpr_kernarg_preload_offset 0
		.amdhsa_user_sgpr_private_segment_size 0
		.amdhsa_uses_dynamic_stack 0
		.amdhsa_system_sgpr_private_segment_wavefront_offset 0
		.amdhsa_system_sgpr_workgroup_id_x 1
		.amdhsa_system_sgpr_workgroup_id_y 0
		.amdhsa_system_sgpr_workgroup_id_z 1
		.amdhsa_system_sgpr_workgroup_info 0
		.amdhsa_system_vgpr_workitem_id 1
		.amdhsa_next_free_vgpr 12
		.amdhsa_next_free_sgpr 28
		.amdhsa_accum_offset 12
		.amdhsa_reserve_vcc 1
		.amdhsa_reserve_flat_scratch 0
		.amdhsa_float_round_mode_32 0
		.amdhsa_float_round_mode_16_64 0
		.amdhsa_float_denorm_mode_32 3
		.amdhsa_float_denorm_mode_16_64 3
		.amdhsa_dx10_clamp 1
		.amdhsa_ieee_mode 1
		.amdhsa_fp16_overflow 0
		.amdhsa_tg_split 0
		.amdhsa_exception_fp_ieee_invalid_op 0
		.amdhsa_exception_fp_denorm_src 0
		.amdhsa_exception_fp_ieee_div_zero 0
		.amdhsa_exception_fp_ieee_overflow 0
		.amdhsa_exception_fp_ieee_underflow 0
		.amdhsa_exception_fp_ieee_inexact 0
		.amdhsa_exception_int_div_zero 0
	.end_amdhsa_kernel
	.section	.text._ZL19rocblas_geam_deviceILi16ELi16E19rocblas_complex_numIfEPKS1_PS1_Ev18rocblas_operation_S5_iiT1_T2_lllS6_S7_lllT3_llli,"axG",@progbits,_ZL19rocblas_geam_deviceILi16ELi16E19rocblas_complex_numIfEPKS1_PS1_Ev18rocblas_operation_S5_iiT1_T2_lllS6_S7_lllT3_llli,comdat
.Lfunc_end25:
	.size	_ZL19rocblas_geam_deviceILi16ELi16E19rocblas_complex_numIfEPKS1_PS1_Ev18rocblas_operation_S5_iiT1_T2_lllS6_S7_lllT3_llli, .Lfunc_end25-_ZL19rocblas_geam_deviceILi16ELi16E19rocblas_complex_numIfEPKS1_PS1_Ev18rocblas_operation_S5_iiT1_T2_lllS6_S7_lllT3_llli
                                        ; -- End function
	.section	.AMDGPU.csdata,"",@progbits
; Kernel info:
; codeLenInByte = 788
; NumSgprs: 32
; NumVgprs: 12
; NumAgprs: 0
; TotalNumVgprs: 12
; ScratchSize: 0
; MemoryBound: 0
; FloatMode: 240
; IeeeMode: 1
; LDSByteSize: 0 bytes/workgroup (compile time only)
; SGPRBlocks: 3
; VGPRBlocks: 1
; NumSGPRsForWavesPerEU: 32
; NumVGPRsForWavesPerEU: 12
; AccumOffset: 12
; Occupancy: 8
; WaveLimiterHint : 0
; COMPUTE_PGM_RSRC2:SCRATCH_EN: 0
; COMPUTE_PGM_RSRC2:USER_SGPR: 6
; COMPUTE_PGM_RSRC2:TRAP_HANDLER: 0
; COMPUTE_PGM_RSRC2:TGID_X_EN: 1
; COMPUTE_PGM_RSRC2:TGID_Y_EN: 0
; COMPUTE_PGM_RSRC2:TGID_Z_EN: 1
; COMPUTE_PGM_RSRC2:TIDIG_COMP_CNT: 1
; COMPUTE_PGM_RSRC3_GFX90A:ACCUM_OFFSET: 2
; COMPUTE_PGM_RSRC3_GFX90A:TG_SPLIT: 0
	.section	.text._ZL19rocblas_geam_deviceILi16ELi16EPK19rocblas_complex_numIfES3_PS1_Ev18rocblas_operation_S5_iiT1_T2_lllS6_S7_lllT3_llli,"axG",@progbits,_ZL19rocblas_geam_deviceILi16ELi16EPK19rocblas_complex_numIfES3_PS1_Ev18rocblas_operation_S5_iiT1_T2_lllS6_S7_lllT3_llli,comdat
	.globl	_ZL19rocblas_geam_deviceILi16ELi16EPK19rocblas_complex_numIfES3_PS1_Ev18rocblas_operation_S5_iiT1_T2_lllS6_S7_lllT3_llli ; -- Begin function _ZL19rocblas_geam_deviceILi16ELi16EPK19rocblas_complex_numIfES3_PS1_Ev18rocblas_operation_S5_iiT1_T2_lllS6_S7_lllT3_llli
	.p2align	8
	.type	_ZL19rocblas_geam_deviceILi16ELi16EPK19rocblas_complex_numIfES3_PS1_Ev18rocblas_operation_S5_iiT1_T2_lllS6_S7_lllT3_llli,@function
_ZL19rocblas_geam_deviceILi16ELi16EPK19rocblas_complex_numIfES3_PS1_Ev18rocblas_operation_S5_iiT1_T2_lllS6_S7_lllT3_llli: ; @_ZL19rocblas_geam_deviceILi16ELi16EPK19rocblas_complex_numIfES3_PS1_Ev18rocblas_operation_S5_iiT1_T2_lllS6_S7_lllT3_llli
; %bb.0:
	s_load_dwordx4 s[24:27], s[4:5], 0x0
	v_and_b32_e32 v2, 0x3ff, v0
	v_bfe_u32 v0, v0, 10, 10
	s_waitcnt lgkmcnt(0)
	s_add_i32 s0, s26, -1
	s_ashr_i32 s1, s0, 31
	s_lshr_b32 s1, s1, 28
	s_add_i32 s0, s0, s1
	s_ashr_i32 s0, s0, 4
	s_add_i32 s1, s0, 1
	v_cvt_f32_u32_e32 v1, s1
	s_not_b32 s0, s0
	v_rcp_iflag_f32_e32 v1, v1
	v_mul_f32_e32 v1, 0x4f7ffffe, v1
	v_cvt_u32_f32_e32 v1, v1
	v_readfirstlane_b32 s2, v1
	s_mul_i32 s0, s0, s2
	s_mul_hi_u32 s0, s2, s0
	s_add_i32 s2, s2, s0
	s_mul_hi_u32 s0, s6, s2
	s_mul_i32 s2, s0, s1
	s_sub_i32 s2, s6, s2
	s_add_i32 s3, s0, 1
	s_sub_i32 s8, s2, s1
	s_cmp_ge_u32 s2, s1
	s_cselect_b32 s0, s3, s0
	s_cselect_b32 s2, s8, s2
	s_add_i32 s3, s0, 1
	s_cmp_ge_u32 s2, s1
	s_cselect_b32 s0, s3, s0
	s_mul_i32 s1, s0, s1
	v_lshl_add_u32 v6, s0, 4, v0
	s_sub_i32 s0, s6, s1
	v_lshl_add_u32 v0, s0, 4, v2
	v_cmp_gt_i32_e32 vcc, s26, v0
	v_cmp_gt_i32_e64 s[0:1], s27, v6
	s_and_b64 s[0:1], vcc, s[0:1]
	s_and_saveexec_b64 s[2:3], s[0:1]
	s_cbranch_execz .LBB26_6
; %bb.1:
	s_load_dwordx16 s[8:23], s[4:5], 0x10
	v_ashrrev_i32_e32 v1, 31, v0
	v_ashrrev_i32_e32 v7, 31, v6
	v_mov_b32_e32 v4, 0
	v_mov_b32_e32 v2, 0
	s_waitcnt lgkmcnt(0)
	s_load_dwordx2 s[26:27], s[8:9], 0x0
	v_mov_b32_e32 v3, 0
	s_load_dwordx2 s[18:19], s[18:19], 0x0
	s_waitcnt lgkmcnt(0)
	s_or_b32 s0, s26, s27
	s_bitset0_b32 s0, 31
	s_cmp_eq_u32 s0, 0
	s_cbranch_scc1 .LBB26_3
; %bb.2:
	s_cmpk_eq_i32 s24, 0x6f
	s_cselect_b64 vcc, -1, 0
	v_cndmask_b32_e32 v2, v0, v6, vcc
	v_cndmask_b32_e32 v3, v1, v7, vcc
	v_mul_lo_u32 v5, v3, s14
	v_mul_lo_u32 v8, v2, s15
	v_mad_u64_u32 v[2:3], s[0:1], v2, s14, 0
	s_mul_i32 s0, s7, s17
	s_mul_hi_u32 s1, s7, s16
	s_add_i32 s1, s1, s0
	s_mul_i32 s0, s7, s16
	s_lshl_b64 s[0:1], s[0:1], 3
	s_add_u32 s2, s10, s0
	s_addc_u32 s3, s11, s1
	s_lshl_b64 s[0:1], s[12:13], 3
	v_add3_u32 v3, v3, v8, v5
	s_add_u32 s0, s2, s0
	s_addc_u32 s1, s3, s1
	v_lshlrev_b64 v[2:3], 3, v[2:3]
	v_cndmask_b32_e32 v9, v7, v1, vcc
	v_cndmask_b32_e32 v8, v6, v0, vcc
	v_mov_b32_e32 v5, s1
	v_add_co_u32_e32 v10, vcc, s0, v2
	v_addc_co_u32_e32 v5, vcc, v5, v3, vcc
	v_lshlrev_b64 v[2:3], 3, v[8:9]
	v_add_co_u32_e32 v2, vcc, v10, v2
	v_addc_co_u32_e32 v3, vcc, v5, v3, vcc
	global_load_dwordx2 v[2:3], v[2:3], off
.LBB26_3:
	s_load_dwordx8 s[8:15], s[4:5], 0x50
	s_load_dwordx4 s[0:3], s[4:5], 0x70
	s_or_b32 s4, s18, s19
	s_bitset0_b32 s4, 31
	s_cmp_eq_u32 s4, 0
	v_mov_b32_e32 v5, 0
	s_cbranch_scc1 .LBB26_5
; %bb.4:
	s_waitcnt lgkmcnt(0)
	s_mul_i32 s4, s7, s11
	s_mul_hi_u32 s5, s7, s10
	s_add_i32 s5, s5, s4
	s_mul_i32 s4, s7, s10
	s_lshl_b64 s[4:5], s[4:5], 3
	s_add_u32 s6, s20, s4
	s_addc_u32 s10, s21, s5
	s_lshl_b64 s[4:5], s[22:23], 3
	s_add_u32 s6, s6, s4
	s_addc_u32 s10, s10, s5
	s_cmpk_eq_i32 s25, 0x6f
	s_cselect_b64 vcc, -1, 0
	v_cndmask_b32_e32 v8, v0, v6, vcc
	v_cndmask_b32_e32 v9, v1, v7, vcc
	v_mul_lo_u32 v10, v9, s8
	v_mul_lo_u32 v11, v8, s9
	v_mad_u64_u32 v[8:9], s[4:5], v8, s8, 0
	v_add3_u32 v9, v9, v11, v10
	v_lshlrev_b64 v[8:9], 3, v[8:9]
	v_cndmask_b32_e32 v5, v7, v1, vcc
	v_cndmask_b32_e32 v4, v6, v0, vcc
	v_mov_b32_e32 v10, s10
	v_add_co_u32_e32 v8, vcc, s6, v8
	v_addc_co_u32_e32 v9, vcc, v10, v9, vcc
	v_lshlrev_b64 v[4:5], 3, v[4:5]
	v_add_co_u32_e32 v4, vcc, v8, v4
	v_addc_co_u32_e32 v5, vcc, v9, v5, vcc
	global_load_dwordx2 v[4:5], v[4:5], off
.LBB26_5:
	s_waitcnt lgkmcnt(0)
	s_mul_i32 s3, s7, s3
	s_mul_hi_u32 s4, s7, s2
	s_add_i32 s3, s4, s3
	s_mul_i32 s2, s7, s2
	s_lshl_b64 s[2:3], s[2:3], 3
	s_add_u32 s4, s12, s2
	s_addc_u32 s5, s13, s3
	s_lshl_b64 s[2:3], s[14:15], 3
	s_add_u32 s2, s4, s2
	s_addc_u32 s3, s5, s3
	v_mul_lo_u32 v8, v7, s0
	v_mul_lo_u32 v9, v6, s1
	v_mad_u64_u32 v[6:7], s[0:1], v6, s0, 0
	s_cmpk_eq_i32 s24, 0x71
	v_add3_u32 v7, v7, v9, v8
	s_cselect_b64 s[0:1], -1, 0
	s_cmpk_eq_i32 s25, 0x71
	s_waitcnt vmcnt(0)
	v_cndmask_b32_e64 v8, v3, -v3, s[0:1]
	s_cselect_b64 s[0:1], -1, 0
	v_lshlrev_b64 v[6:7], 3, v[6:7]
	v_cndmask_b32_e64 v10, v5, -v5, s[0:1]
	v_mov_b32_e32 v3, s3
	v_add_co_u32_e32 v5, vcc, s2, v6
	v_addc_co_u32_e32 v3, vcc, v3, v7, vcc
	v_lshlrev_b64 v[0:1], 3, v[0:1]
	v_pk_mul_f32 v[6:7], v[10:11], s[18:19] op_sel_hi:[0,1]
	v_add_co_u32_e32 v0, vcc, v5, v0
	v_pk_fma_f32 v[10:11], v[4:5], s[18:19], v[6:7] op_sel:[0,0,1] op_sel_hi:[1,1,0] neg_lo:[0,0,1] neg_hi:[0,0,1]
	v_pk_fma_f32 v[4:5], v[4:5], s[18:19], v[6:7] op_sel:[0,0,1] op_sel_hi:[0,1,0]
	v_mov_b32_e32 v11, v5
	v_pk_mul_f32 v[4:5], v[8:9], s[26:27] op_sel_hi:[0,1]
	v_addc_co_u32_e32 v1, vcc, v3, v1, vcc
	v_pk_fma_f32 v[6:7], v[2:3], s[26:27], v[4:5] op_sel:[0,0,1] op_sel_hi:[1,1,0] neg_lo:[0,0,1] neg_hi:[0,0,1]
	v_pk_fma_f32 v[2:3], v[2:3], s[26:27], v[4:5] op_sel:[0,0,1] op_sel_hi:[0,1,0]
	v_mov_b32_e32 v7, v3
	v_pk_add_f32 v[2:3], v[6:7], v[10:11]
	global_store_dwordx2 v[0:1], v[2:3], off
.LBB26_6:
	s_endpgm
	.section	.rodata,"a",@progbits
	.p2align	6, 0x0
	.amdhsa_kernel _ZL19rocblas_geam_deviceILi16ELi16EPK19rocblas_complex_numIfES3_PS1_Ev18rocblas_operation_S5_iiT1_T2_lllS6_S7_lllT3_llli
		.amdhsa_group_segment_fixed_size 0
		.amdhsa_private_segment_fixed_size 0
		.amdhsa_kernarg_size 132
		.amdhsa_user_sgpr_count 6
		.amdhsa_user_sgpr_private_segment_buffer 1
		.amdhsa_user_sgpr_dispatch_ptr 0
		.amdhsa_user_sgpr_queue_ptr 0
		.amdhsa_user_sgpr_kernarg_segment_ptr 1
		.amdhsa_user_sgpr_dispatch_id 0
		.amdhsa_user_sgpr_flat_scratch_init 0
		.amdhsa_user_sgpr_kernarg_preload_length 0
		.amdhsa_user_sgpr_kernarg_preload_offset 0
		.amdhsa_user_sgpr_private_segment_size 0
		.amdhsa_uses_dynamic_stack 0
		.amdhsa_system_sgpr_private_segment_wavefront_offset 0
		.amdhsa_system_sgpr_workgroup_id_x 1
		.amdhsa_system_sgpr_workgroup_id_y 0
		.amdhsa_system_sgpr_workgroup_id_z 1
		.amdhsa_system_sgpr_workgroup_info 0
		.amdhsa_system_vgpr_workitem_id 1
		.amdhsa_next_free_vgpr 12
		.amdhsa_next_free_sgpr 28
		.amdhsa_accum_offset 12
		.amdhsa_reserve_vcc 1
		.amdhsa_reserve_flat_scratch 0
		.amdhsa_float_round_mode_32 0
		.amdhsa_float_round_mode_16_64 0
		.amdhsa_float_denorm_mode_32 3
		.amdhsa_float_denorm_mode_16_64 3
		.amdhsa_dx10_clamp 1
		.amdhsa_ieee_mode 1
		.amdhsa_fp16_overflow 0
		.amdhsa_tg_split 0
		.amdhsa_exception_fp_ieee_invalid_op 0
		.amdhsa_exception_fp_denorm_src 0
		.amdhsa_exception_fp_ieee_div_zero 0
		.amdhsa_exception_fp_ieee_overflow 0
		.amdhsa_exception_fp_ieee_underflow 0
		.amdhsa_exception_fp_ieee_inexact 0
		.amdhsa_exception_int_div_zero 0
	.end_amdhsa_kernel
	.section	.text._ZL19rocblas_geam_deviceILi16ELi16EPK19rocblas_complex_numIfES3_PS1_Ev18rocblas_operation_S5_iiT1_T2_lllS6_S7_lllT3_llli,"axG",@progbits,_ZL19rocblas_geam_deviceILi16ELi16EPK19rocblas_complex_numIfES3_PS1_Ev18rocblas_operation_S5_iiT1_T2_lllS6_S7_lllT3_llli,comdat
.Lfunc_end26:
	.size	_ZL19rocblas_geam_deviceILi16ELi16EPK19rocblas_complex_numIfES3_PS1_Ev18rocblas_operation_S5_iiT1_T2_lllS6_S7_lllT3_llli, .Lfunc_end26-_ZL19rocblas_geam_deviceILi16ELi16EPK19rocblas_complex_numIfES3_PS1_Ev18rocblas_operation_S5_iiT1_T2_lllS6_S7_lllT3_llli
                                        ; -- End function
	.section	.AMDGPU.csdata,"",@progbits
; Kernel info:
; codeLenInByte = 796
; NumSgprs: 32
; NumVgprs: 12
; NumAgprs: 0
; TotalNumVgprs: 12
; ScratchSize: 0
; MemoryBound: 0
; FloatMode: 240
; IeeeMode: 1
; LDSByteSize: 0 bytes/workgroup (compile time only)
; SGPRBlocks: 3
; VGPRBlocks: 1
; NumSGPRsForWavesPerEU: 32
; NumVGPRsForWavesPerEU: 12
; AccumOffset: 12
; Occupancy: 8
; WaveLimiterHint : 0
; COMPUTE_PGM_RSRC2:SCRATCH_EN: 0
; COMPUTE_PGM_RSRC2:USER_SGPR: 6
; COMPUTE_PGM_RSRC2:TRAP_HANDLER: 0
; COMPUTE_PGM_RSRC2:TGID_X_EN: 1
; COMPUTE_PGM_RSRC2:TGID_Y_EN: 0
; COMPUTE_PGM_RSRC2:TGID_Z_EN: 1
; COMPUTE_PGM_RSRC2:TIDIG_COMP_CNT: 1
; COMPUTE_PGM_RSRC3_GFX90A:ACCUM_OFFSET: 2
; COMPUTE_PGM_RSRC3_GFX90A:TG_SPLIT: 0
	.section	.text._ZL31rocblas_geam_zero_matrix_deviceILi16ELi16EP19rocblas_complex_numIdEEviiT1_llli,"axG",@progbits,_ZL31rocblas_geam_zero_matrix_deviceILi16ELi16EP19rocblas_complex_numIdEEviiT1_llli,comdat
	.globl	_ZL31rocblas_geam_zero_matrix_deviceILi16ELi16EP19rocblas_complex_numIdEEviiT1_llli ; -- Begin function _ZL31rocblas_geam_zero_matrix_deviceILi16ELi16EP19rocblas_complex_numIdEEviiT1_llli
	.p2align	8
	.type	_ZL31rocblas_geam_zero_matrix_deviceILi16ELi16EP19rocblas_complex_numIdEEviiT1_llli,@function
_ZL31rocblas_geam_zero_matrix_deviceILi16ELi16EP19rocblas_complex_numIdEEviiT1_llli: ; @_ZL31rocblas_geam_zero_matrix_deviceILi16ELi16EP19rocblas_complex_numIdEEviiT1_llli
; %bb.0:
	s_load_dwordx2 s[0:1], s[4:5], 0x0
	v_and_b32_e32 v3, 0x3ff, v0
	v_bfe_u32 v0, v0, 10, 10
	s_waitcnt lgkmcnt(0)
	s_add_i32 s2, s0, -1
	s_ashr_i32 s3, s2, 31
	s_lshr_b32 s3, s3, 28
	s_add_i32 s2, s2, s3
	s_ashr_i32 s2, s2, 4
	s_add_i32 s3, s2, 1
	v_cvt_f32_u32_e32 v1, s3
	s_not_b32 s2, s2
	v_rcp_iflag_f32_e32 v1, v1
	v_mul_f32_e32 v1, 0x4f7ffffe, v1
	v_cvt_u32_f32_e32 v1, v1
	v_readfirstlane_b32 s8, v1
	s_mul_i32 s2, s2, s8
	s_mul_hi_u32 s2, s8, s2
	s_add_i32 s8, s8, s2
	s_mul_hi_u32 s2, s6, s8
	s_mul_i32 s8, s2, s3
	s_sub_i32 s8, s6, s8
	s_add_i32 s9, s2, 1
	s_sub_i32 s10, s8, s3
	s_cmp_ge_u32 s8, s3
	s_cselect_b32 s2, s9, s2
	s_cselect_b32 s8, s10, s8
	s_add_i32 s9, s2, 1
	s_cmp_ge_u32 s8, s3
	s_cselect_b32 s2, s9, s2
	s_mul_i32 s3, s2, s3
	v_lshl_add_u32 v2, s2, 4, v0
	s_sub_i32 s2, s6, s3
	v_lshl_add_u32 v0, s2, 4, v3
	v_cmp_gt_i32_e32 vcc, s0, v0
	v_cmp_gt_i32_e64 s[0:1], s1, v2
	s_and_b64 s[0:1], vcc, s[0:1]
	s_and_saveexec_b64 s[2:3], s[0:1]
	s_cbranch_execz .LBB27_2
; %bb.1:
	s_load_dwordx8 s[8:15], s[4:5], 0x8
	v_ashrrev_i32_e32 v3, 31, v2
	v_ashrrev_i32_e32 v1, 31, v0
	v_lshlrev_b64 v[0:1], 4, v[0:1]
	s_waitcnt lgkmcnt(0)
	s_mul_i32 s1, s7, s15
	s_mul_hi_u32 s2, s7, s14
	s_mul_i32 s0, s7, s14
	s_add_i32 s1, s2, s1
	s_lshl_b64 s[0:1], s[0:1], 4
	s_add_u32 s2, s8, s0
	s_addc_u32 s3, s9, s1
	s_lshl_b64 s[0:1], s[10:11], 4
	s_add_u32 s2, s2, s0
	s_addc_u32 s3, s3, s1
	v_mul_lo_u32 v4, v2, s13
	v_mul_lo_u32 v5, v3, s12
	v_mad_u64_u32 v[2:3], s[0:1], v2, s12, 0
	v_add3_u32 v3, v3, v4, v5
	v_lshlrev_b64 v[2:3], 4, v[2:3]
	v_mov_b32_e32 v4, s3
	v_add_co_u32_e32 v2, vcc, s2, v2
	v_addc_co_u32_e32 v3, vcc, v4, v3, vcc
	v_add_co_u32_e32 v4, vcc, v2, v0
	v_mov_b32_e32 v0, 0
	v_addc_co_u32_e32 v5, vcc, v3, v1, vcc
	v_mov_b32_e32 v1, v0
	v_mov_b32_e32 v2, v0
	;; [unrolled: 1-line block ×3, first 2 shown]
	global_store_dwordx4 v[4:5], v[0:3], off
.LBB27_2:
	s_endpgm
	.section	.rodata,"a",@progbits
	.p2align	6, 0x0
	.amdhsa_kernel _ZL31rocblas_geam_zero_matrix_deviceILi16ELi16EP19rocblas_complex_numIdEEviiT1_llli
		.amdhsa_group_segment_fixed_size 0
		.amdhsa_private_segment_fixed_size 0
		.amdhsa_kernarg_size 44
		.amdhsa_user_sgpr_count 6
		.amdhsa_user_sgpr_private_segment_buffer 1
		.amdhsa_user_sgpr_dispatch_ptr 0
		.amdhsa_user_sgpr_queue_ptr 0
		.amdhsa_user_sgpr_kernarg_segment_ptr 1
		.amdhsa_user_sgpr_dispatch_id 0
		.amdhsa_user_sgpr_flat_scratch_init 0
		.amdhsa_user_sgpr_kernarg_preload_length 0
		.amdhsa_user_sgpr_kernarg_preload_offset 0
		.amdhsa_user_sgpr_private_segment_size 0
		.amdhsa_uses_dynamic_stack 0
		.amdhsa_system_sgpr_private_segment_wavefront_offset 0
		.amdhsa_system_sgpr_workgroup_id_x 1
		.amdhsa_system_sgpr_workgroup_id_y 0
		.amdhsa_system_sgpr_workgroup_id_z 1
		.amdhsa_system_sgpr_workgroup_info 0
		.amdhsa_system_vgpr_workitem_id 1
		.amdhsa_next_free_vgpr 6
		.amdhsa_next_free_sgpr 16
		.amdhsa_accum_offset 8
		.amdhsa_reserve_vcc 1
		.amdhsa_reserve_flat_scratch 0
		.amdhsa_float_round_mode_32 0
		.amdhsa_float_round_mode_16_64 0
		.amdhsa_float_denorm_mode_32 3
		.amdhsa_float_denorm_mode_16_64 3
		.amdhsa_dx10_clamp 1
		.amdhsa_ieee_mode 1
		.amdhsa_fp16_overflow 0
		.amdhsa_tg_split 0
		.amdhsa_exception_fp_ieee_invalid_op 0
		.amdhsa_exception_fp_denorm_src 0
		.amdhsa_exception_fp_ieee_div_zero 0
		.amdhsa_exception_fp_ieee_overflow 0
		.amdhsa_exception_fp_ieee_underflow 0
		.amdhsa_exception_fp_ieee_inexact 0
		.amdhsa_exception_int_div_zero 0
	.end_amdhsa_kernel
	.section	.text._ZL31rocblas_geam_zero_matrix_deviceILi16ELi16EP19rocblas_complex_numIdEEviiT1_llli,"axG",@progbits,_ZL31rocblas_geam_zero_matrix_deviceILi16ELi16EP19rocblas_complex_numIdEEviiT1_llli,comdat
.Lfunc_end27:
	.size	_ZL31rocblas_geam_zero_matrix_deviceILi16ELi16EP19rocblas_complex_numIdEEviiT1_llli, .Lfunc_end27-_ZL31rocblas_geam_zero_matrix_deviceILi16ELi16EP19rocblas_complex_numIdEEviiT1_llli
                                        ; -- End function
	.section	.AMDGPU.csdata,"",@progbits
; Kernel info:
; codeLenInByte = 340
; NumSgprs: 20
; NumVgprs: 6
; NumAgprs: 0
; TotalNumVgprs: 6
; ScratchSize: 0
; MemoryBound: 0
; FloatMode: 240
; IeeeMode: 1
; LDSByteSize: 0 bytes/workgroup (compile time only)
; SGPRBlocks: 2
; VGPRBlocks: 0
; NumSGPRsForWavesPerEU: 20
; NumVGPRsForWavesPerEU: 6
; AccumOffset: 8
; Occupancy: 8
; WaveLimiterHint : 0
; COMPUTE_PGM_RSRC2:SCRATCH_EN: 0
; COMPUTE_PGM_RSRC2:USER_SGPR: 6
; COMPUTE_PGM_RSRC2:TRAP_HANDLER: 0
; COMPUTE_PGM_RSRC2:TGID_X_EN: 1
; COMPUTE_PGM_RSRC2:TGID_Y_EN: 0
; COMPUTE_PGM_RSRC2:TGID_Z_EN: 1
; COMPUTE_PGM_RSRC2:TIDIG_COMP_CNT: 1
; COMPUTE_PGM_RSRC3_GFX90A:ACCUM_OFFSET: 1
; COMPUTE_PGM_RSRC3_GFX90A:TG_SPLIT: 0
	.section	.text._ZL27rocblas_geam_inplace_deviceILi16ELi16E19rocblas_complex_numIdEPKS1_PS1_Ev18rocblas_operation_iiT1_S6_T2_lllT3_llli,"axG",@progbits,_ZL27rocblas_geam_inplace_deviceILi16ELi16E19rocblas_complex_numIdEPKS1_PS1_Ev18rocblas_operation_iiT1_S6_T2_lllT3_llli,comdat
	.globl	_ZL27rocblas_geam_inplace_deviceILi16ELi16E19rocblas_complex_numIdEPKS1_PS1_Ev18rocblas_operation_iiT1_S6_T2_lllT3_llli ; -- Begin function _ZL27rocblas_geam_inplace_deviceILi16ELi16E19rocblas_complex_numIdEPKS1_PS1_Ev18rocblas_operation_iiT1_S6_T2_lllT3_llli
	.p2align	8
	.type	_ZL27rocblas_geam_inplace_deviceILi16ELi16E19rocblas_complex_numIdEPKS1_PS1_Ev18rocblas_operation_iiT1_S6_T2_lllT3_llli,@function
_ZL27rocblas_geam_inplace_deviceILi16ELi16E19rocblas_complex_numIdEPKS1_PS1_Ev18rocblas_operation_iiT1_S6_T2_lllT3_llli: ; @_ZL27rocblas_geam_inplace_deviceILi16ELi16E19rocblas_complex_numIdEPKS1_PS1_Ev18rocblas_operation_iiT1_S6_T2_lllT3_llli
; %bb.0:
	s_load_dwordx4 s[24:27], s[4:5], 0x0
	v_and_b32_e32 v2, 0x3ff, v0
	v_bfe_u32 v0, v0, 10, 10
	s_waitcnt lgkmcnt(0)
	s_add_i32 s0, s25, -1
	s_ashr_i32 s1, s0, 31
	s_lshr_b32 s1, s1, 28
	s_add_i32 s0, s0, s1
	s_ashr_i32 s0, s0, 4
	s_add_i32 s1, s0, 1
	v_cvt_f32_u32_e32 v1, s1
	s_not_b32 s0, s0
	v_rcp_iflag_f32_e32 v1, v1
	v_mul_f32_e32 v1, 0x4f7ffffe, v1
	v_cvt_u32_f32_e32 v1, v1
	v_readfirstlane_b32 s2, v1
	s_mul_i32 s0, s0, s2
	s_mul_hi_u32 s0, s2, s0
	s_add_i32 s2, s2, s0
	s_mul_hi_u32 s0, s6, s2
	s_mul_i32 s2, s0, s1
	s_sub_i32 s2, s6, s2
	s_add_i32 s3, s0, 1
	s_sub_i32 s8, s2, s1
	s_cmp_ge_u32 s2, s1
	s_cselect_b32 s0, s3, s0
	s_cselect_b32 s2, s8, s2
	s_add_i32 s3, s0, 1
	s_cmp_ge_u32 s2, s1
	s_cselect_b32 s0, s3, s0
	s_mul_i32 s1, s0, s1
	v_lshl_add_u32 v0, s0, 4, v0
	s_sub_i32 s0, s6, s1
	v_lshl_add_u32 v2, s0, 4, v2
	v_cmp_gt_i32_e32 vcc, s25, v2
	v_cmp_gt_i32_e64 s[0:1], s26, v0
	s_and_b64 s[0:1], vcc, s[0:1]
	s_and_saveexec_b64 s[2:3], s[0:1]
	s_cbranch_execz .LBB28_11
; %bb.1:
	s_load_dwordx8 s[36:43], s[4:5], 0x50
	s_load_dwordx16 s[8:23], s[4:5], 0x10
	v_ashrrev_i32_e32 v3, 31, v2
	v_ashrrev_i32_e32 v1, 31, v0
	s_waitcnt lgkmcnt(0)
	s_mul_i32 s1, s7, s43
	s_mul_hi_u32 s2, s7, s42
	s_mul_i32 s0, s7, s42
	s_add_i32 s1, s2, s1
	s_lshl_b64 s[0:1], s[0:1], 4
	s_add_u32 s2, s36, s0
	s_addc_u32 s3, s37, s1
	s_lshl_b64 s[0:1], s[38:39], 4
	s_add_u32 s2, s2, s0
	s_addc_u32 s3, s3, s1
	v_mad_u64_u32 v[4:5], s[0:1], v0, s40, v[2:3]
	v_mul_lo_u32 v6, v0, s41
	v_mul_lo_u32 v7, v1, s40
	v_cmp_eq_f64_e64 s[0:1], s[12:13], 0
	v_cmp_eq_f64_e64 s[4:5], s[14:15], 0
	v_add3_u32 v5, v7, v5, v6
	s_and_b64 s[4:5], s[0:1], s[4:5]
	s_mov_b64 s[0:1], -1
	s_andn2_b64 vcc, exec, s[4:5]
	v_lshlrev_b64 v[4:5], 4, v[4:5]
	s_cbranch_vccz .LBB28_7
; %bb.2:
	s_mul_i32 s0, s7, s23
	s_mul_hi_u32 s1, s7, s22
	s_add_i32 s1, s1, s0
	s_mul_i32 s0, s7, s22
	s_lshl_b64 s[0:1], s[0:1], 4
	s_add_u32 s4, s16, s0
	s_addc_u32 s5, s17, s1
	s_lshl_b64 s[0:1], s[18:19], 4
	s_add_u32 s4, s4, s0
	s_addc_u32 s5, s5, s1
	s_cmpk_eq_i32 s24, 0x6f
	s_cselect_b64 vcc, -1, 0
	v_cndmask_b32_e32 v6, v2, v0, vcc
	v_cndmask_b32_e32 v7, v3, v1, vcc
	;; [unrolled: 1-line block ×4, first 2 shown]
	v_mul_lo_u32 v7, v7, s20
	v_mul_lo_u32 v8, v6, s21
	v_mad_u64_u32 v[2:3], s[0:1], v6, s20, 0
	v_add3_u32 v3, v3, v8, v7
	v_lshlrev_b64 v[2:3], 4, v[2:3]
	v_mov_b32_e32 v6, s5
	v_add_co_u32_e32 v2, vcc, s4, v2
	v_addc_co_u32_e32 v3, vcc, v6, v3, vcc
	v_lshlrev_b64 v[0:1], 4, v[0:1]
	v_add_co_u32_e32 v0, vcc, v2, v0
	v_addc_co_u32_e32 v1, vcc, v3, v1, vcc
	global_load_dwordx4 v[8:11], v[0:1], off
	v_mov_b32_e32 v0, s3
	v_add_co_u32_e32 v6, vcc, s2, v4
	v_addc_co_u32_e32 v7, vcc, v0, v5, vcc
	s_cmpk_eq_i32 s24, 0x71
	s_cselect_b64 vcc, -1, 0
	v_cmp_eq_f64_e64 s[0:1], s[8:9], 0
	v_cmp_eq_f64_e64 s[4:5], s[10:11], 0
	s_and_b64 s[0:1], s[0:1], s[4:5]
	s_waitcnt vmcnt(0)
	v_xor_b32_e32 v0, 0x80000000, v11
	v_cndmask_b32_e32 v11, v11, v0, vcc
	v_mul_f64 v[0:1], s[14:15], v[10:11]
	v_mul_f64 v[2:3], s[12:13], v[10:11]
	s_andn2_b64 vcc, exec, s[0:1]
	v_fma_f64 v[0:1], s[12:13], v[8:9], -v[0:1]
	v_fmac_f64_e32 v[2:3], s[14:15], v[8:9]
	s_mov_b64 s[0:1], -1
	s_cbranch_vccz .LBB28_4
; %bb.3:
	global_load_dwordx4 v[8:11], v[6:7], off
	s_mov_b64 s[0:1], 0
	s_waitcnt vmcnt(0)
	v_mul_f64 v[12:13], s[10:11], v[10:11]
	v_mul_f64 v[10:11], s[8:9], v[10:11]
	v_fma_f64 v[12:13], s[8:9], v[8:9], -v[12:13]
	v_fmac_f64_e32 v[10:11], s[10:11], v[8:9]
	v_add_f64 v[8:9], v[0:1], v[12:13]
	v_add_f64 v[10:11], v[2:3], v[10:11]
	global_store_dwordx4 v[6:7], v[8:11], off
.LBB28_4:
	s_andn2_b64 vcc, exec, s[0:1]
	s_cbranch_vccnz .LBB28_6
; %bb.5:
	global_store_dwordx4 v[6:7], v[0:3], off
.LBB28_6:
	s_mov_b64 s[0:1], 0
.LBB28_7:
	s_andn2_b64 vcc, exec, s[0:1]
	s_cbranch_vccnz .LBB28_11
; %bb.8:
	v_cmp_neq_f64_e64 s[0:1], s[8:9], 0
	v_cmp_neq_f64_e64 s[4:5], s[10:11], 0
	v_pk_mov_b32 v[0:1], 0, 0
	s_or_b64 s[0:1], s[0:1], s[4:5]
	s_andn2_b64 vcc, exec, s[0:1]
	v_pk_mov_b32 v[2:3], v[0:1], v[0:1] op_sel:[0,1]
	s_cbranch_vccnz .LBB28_10
; %bb.9:
	v_mov_b32_e32 v1, s3
	v_add_co_u32_e32 v0, vcc, s2, v4
	v_addc_co_u32_e32 v1, vcc, v1, v5, vcc
	global_load_dwordx4 v[6:9], v[0:1], off
	s_waitcnt vmcnt(0)
	v_mul_f64 v[0:1], s[10:11], v[8:9]
	v_mul_f64 v[2:3], s[8:9], v[8:9]
	v_fma_f64 v[0:1], s[8:9], v[6:7], -v[0:1]
	v_fmac_f64_e32 v[2:3], s[10:11], v[6:7]
.LBB28_10:
	v_mov_b32_e32 v6, s3
	v_add_co_u32_e32 v4, vcc, s2, v4
	v_addc_co_u32_e32 v5, vcc, v6, v5, vcc
	global_store_dwordx4 v[4:5], v[0:3], off
.LBB28_11:
	s_endpgm
	.section	.rodata,"a",@progbits
	.p2align	6, 0x0
	.amdhsa_kernel _ZL27rocblas_geam_inplace_deviceILi16ELi16E19rocblas_complex_numIdEPKS1_PS1_Ev18rocblas_operation_iiT1_S6_T2_lllT3_llli
		.amdhsa_group_segment_fixed_size 0
		.amdhsa_private_segment_fixed_size 0
		.amdhsa_kernarg_size 116
		.amdhsa_user_sgpr_count 6
		.amdhsa_user_sgpr_private_segment_buffer 1
		.amdhsa_user_sgpr_dispatch_ptr 0
		.amdhsa_user_sgpr_queue_ptr 0
		.amdhsa_user_sgpr_kernarg_segment_ptr 1
		.amdhsa_user_sgpr_dispatch_id 0
		.amdhsa_user_sgpr_flat_scratch_init 0
		.amdhsa_user_sgpr_kernarg_preload_length 0
		.amdhsa_user_sgpr_kernarg_preload_offset 0
		.amdhsa_user_sgpr_private_segment_size 0
		.amdhsa_uses_dynamic_stack 0
		.amdhsa_system_sgpr_private_segment_wavefront_offset 0
		.amdhsa_system_sgpr_workgroup_id_x 1
		.amdhsa_system_sgpr_workgroup_id_y 0
		.amdhsa_system_sgpr_workgroup_id_z 1
		.amdhsa_system_sgpr_workgroup_info 0
		.amdhsa_system_vgpr_workitem_id 1
		.amdhsa_next_free_vgpr 14
		.amdhsa_next_free_sgpr 44
		.amdhsa_accum_offset 16
		.amdhsa_reserve_vcc 1
		.amdhsa_reserve_flat_scratch 0
		.amdhsa_float_round_mode_32 0
		.amdhsa_float_round_mode_16_64 0
		.amdhsa_float_denorm_mode_32 3
		.amdhsa_float_denorm_mode_16_64 3
		.amdhsa_dx10_clamp 1
		.amdhsa_ieee_mode 1
		.amdhsa_fp16_overflow 0
		.amdhsa_tg_split 0
		.amdhsa_exception_fp_ieee_invalid_op 0
		.amdhsa_exception_fp_denorm_src 0
		.amdhsa_exception_fp_ieee_div_zero 0
		.amdhsa_exception_fp_ieee_overflow 0
		.amdhsa_exception_fp_ieee_underflow 0
		.amdhsa_exception_fp_ieee_inexact 0
		.amdhsa_exception_int_div_zero 0
	.end_amdhsa_kernel
	.section	.text._ZL27rocblas_geam_inplace_deviceILi16ELi16E19rocblas_complex_numIdEPKS1_PS1_Ev18rocblas_operation_iiT1_S6_T2_lllT3_llli,"axG",@progbits,_ZL27rocblas_geam_inplace_deviceILi16ELi16E19rocblas_complex_numIdEPKS1_PS1_Ev18rocblas_operation_iiT1_S6_T2_lllT3_llli,comdat
.Lfunc_end28:
	.size	_ZL27rocblas_geam_inplace_deviceILi16ELi16E19rocblas_complex_numIdEPKS1_PS1_Ev18rocblas_operation_iiT1_S6_T2_lllT3_llli, .Lfunc_end28-_ZL27rocblas_geam_inplace_deviceILi16ELi16E19rocblas_complex_numIdEPKS1_PS1_Ev18rocblas_operation_iiT1_S6_T2_lllT3_llli
                                        ; -- End function
	.section	.AMDGPU.csdata,"",@progbits
; Kernel info:
; codeLenInByte = 776
; NumSgprs: 48
; NumVgprs: 14
; NumAgprs: 0
; TotalNumVgprs: 14
; ScratchSize: 0
; MemoryBound: 0
; FloatMode: 240
; IeeeMode: 1
; LDSByteSize: 0 bytes/workgroup (compile time only)
; SGPRBlocks: 5
; VGPRBlocks: 1
; NumSGPRsForWavesPerEU: 48
; NumVGPRsForWavesPerEU: 14
; AccumOffset: 16
; Occupancy: 8
; WaveLimiterHint : 0
; COMPUTE_PGM_RSRC2:SCRATCH_EN: 0
; COMPUTE_PGM_RSRC2:USER_SGPR: 6
; COMPUTE_PGM_RSRC2:TRAP_HANDLER: 0
; COMPUTE_PGM_RSRC2:TGID_X_EN: 1
; COMPUTE_PGM_RSRC2:TGID_Y_EN: 0
; COMPUTE_PGM_RSRC2:TGID_Z_EN: 1
; COMPUTE_PGM_RSRC2:TIDIG_COMP_CNT: 1
; COMPUTE_PGM_RSRC3_GFX90A:ACCUM_OFFSET: 3
; COMPUTE_PGM_RSRC3_GFX90A:TG_SPLIT: 0
	.section	.text._ZL27rocblas_geam_inplace_deviceILi16ELi16EPK19rocblas_complex_numIdES3_PS1_Ev18rocblas_operation_iiT1_S6_T2_lllT3_llli,"axG",@progbits,_ZL27rocblas_geam_inplace_deviceILi16ELi16EPK19rocblas_complex_numIdES3_PS1_Ev18rocblas_operation_iiT1_S6_T2_lllT3_llli,comdat
	.globl	_ZL27rocblas_geam_inplace_deviceILi16ELi16EPK19rocblas_complex_numIdES3_PS1_Ev18rocblas_operation_iiT1_S6_T2_lllT3_llli ; -- Begin function _ZL27rocblas_geam_inplace_deviceILi16ELi16EPK19rocblas_complex_numIdES3_PS1_Ev18rocblas_operation_iiT1_S6_T2_lllT3_llli
	.p2align	8
	.type	_ZL27rocblas_geam_inplace_deviceILi16ELi16EPK19rocblas_complex_numIdES3_PS1_Ev18rocblas_operation_iiT1_S6_T2_lllT3_llli,@function
_ZL27rocblas_geam_inplace_deviceILi16ELi16EPK19rocblas_complex_numIdES3_PS1_Ev18rocblas_operation_iiT1_S6_T2_lllT3_llli: ; @_ZL27rocblas_geam_inplace_deviceILi16ELi16EPK19rocblas_complex_numIdES3_PS1_Ev18rocblas_operation_iiT1_S6_T2_lllT3_llli
; %bb.0:
	s_load_dwordx4 s[24:27], s[4:5], 0x0
	v_and_b32_e32 v2, 0x3ff, v0
	v_bfe_u32 v0, v0, 10, 10
	s_waitcnt lgkmcnt(0)
	s_add_i32 s0, s25, -1
	s_ashr_i32 s1, s0, 31
	s_lshr_b32 s1, s1, 28
	s_add_i32 s0, s0, s1
	s_ashr_i32 s0, s0, 4
	s_add_i32 s1, s0, 1
	v_cvt_f32_u32_e32 v1, s1
	s_not_b32 s0, s0
	v_rcp_iflag_f32_e32 v1, v1
	v_mul_f32_e32 v1, 0x4f7ffffe, v1
	v_cvt_u32_f32_e32 v1, v1
	v_readfirstlane_b32 s2, v1
	s_mul_i32 s0, s0, s2
	s_mul_hi_u32 s0, s2, s0
	s_add_i32 s2, s2, s0
	s_mul_hi_u32 s0, s6, s2
	s_mul_i32 s2, s0, s1
	s_sub_i32 s2, s6, s2
	s_add_i32 s3, s0, 1
	s_sub_i32 s8, s2, s1
	s_cmp_ge_u32 s2, s1
	s_cselect_b32 s0, s3, s0
	s_cselect_b32 s2, s8, s2
	s_add_i32 s3, s0, 1
	s_cmp_ge_u32 s2, s1
	s_cselect_b32 s0, s3, s0
	s_mul_i32 s1, s0, s1
	v_lshl_add_u32 v0, s0, 4, v0
	s_sub_i32 s0, s6, s1
	v_lshl_add_u32 v2, s0, 4, v2
	v_cmp_gt_i32_e32 vcc, s25, v2
	v_cmp_gt_i32_e64 s[0:1], s26, v0
	s_and_b64 s[0:1], vcc, s[0:1]
	s_and_saveexec_b64 s[2:3], s[0:1]
	s_cbranch_execz .LBB29_11
; %bb.1:
	s_load_dwordx16 s[8:23], s[4:5], 0x10
	s_load_dwordx4 s[36:39], s[4:5], 0x50
	v_ashrrev_i32_e32 v3, 31, v2
	v_ashrrev_i32_e32 v1, 31, v0
	s_waitcnt lgkmcnt(0)
	s_load_dwordx4 s[0:3], s[8:9], 0x0
	s_load_dwordx4 s[28:31], s[10:11], 0x0
	s_mul_i32 s4, s7, s39
	s_mul_hi_u32 s5, s7, s38
	s_add_i32 s5, s5, s4
	s_mul_i32 s4, s7, s38
	s_lshl_b64 s[4:5], s[4:5], 4
	s_add_u32 s6, s20, s4
	s_addc_u32 s8, s21, s5
	s_lshl_b64 s[4:5], s[22:23], 4
	s_add_u32 s6, s6, s4
	s_addc_u32 s8, s8, s5
	v_mad_u64_u32 v[4:5], s[4:5], v0, s36, v[2:3]
	v_mul_lo_u32 v6, v0, s37
	v_mul_lo_u32 v7, v1, s36
	s_waitcnt lgkmcnt(0)
	v_cmp_eq_f64_e64 s[4:5], s[28:29], 0
	v_cmp_eq_f64_e64 s[10:11], s[30:31], 0
	v_add3_u32 v5, v7, v5, v6
	s_and_b64 s[10:11], s[4:5], s[10:11]
	s_mov_b64 s[4:5], -1
	s_andn2_b64 vcc, exec, s[10:11]
	v_lshlrev_b64 v[4:5], 4, v[4:5]
	s_cbranch_vccz .LBB29_7
; %bb.2:
	s_mul_i32 s4, s7, s19
	s_mul_hi_u32 s5, s7, s18
	s_add_i32 s5, s5, s4
	s_mul_i32 s4, s7, s18
	s_lshl_b64 s[4:5], s[4:5], 4
	s_add_u32 s7, s12, s4
	s_addc_u32 s9, s13, s5
	s_lshl_b64 s[4:5], s[14:15], 4
	s_add_u32 s7, s7, s4
	s_addc_u32 s9, s9, s5
	s_cmpk_eq_i32 s24, 0x6f
	s_cselect_b64 vcc, -1, 0
	v_cndmask_b32_e32 v6, v2, v0, vcc
	v_cndmask_b32_e32 v7, v3, v1, vcc
	;; [unrolled: 1-line block ×4, first 2 shown]
	v_mul_lo_u32 v7, v7, s16
	v_mul_lo_u32 v8, v6, s17
	v_mad_u64_u32 v[2:3], s[4:5], v6, s16, 0
	v_add3_u32 v3, v3, v8, v7
	v_lshlrev_b64 v[2:3], 4, v[2:3]
	v_mov_b32_e32 v6, s9
	v_add_co_u32_e32 v2, vcc, s7, v2
	v_addc_co_u32_e32 v3, vcc, v6, v3, vcc
	v_lshlrev_b64 v[0:1], 4, v[0:1]
	v_add_co_u32_e32 v0, vcc, v2, v0
	v_addc_co_u32_e32 v1, vcc, v3, v1, vcc
	global_load_dwordx4 v[8:11], v[0:1], off
	v_mov_b32_e32 v0, s8
	v_add_co_u32_e32 v6, vcc, s6, v4
	v_addc_co_u32_e32 v7, vcc, v0, v5, vcc
	s_cmpk_eq_i32 s24, 0x71
	s_cselect_b64 vcc, -1, 0
	v_cmp_eq_f64_e64 s[4:5], s[0:1], 0
	v_cmp_eq_f64_e64 s[10:11], s[2:3], 0
	s_and_b64 s[4:5], s[4:5], s[10:11]
	s_waitcnt vmcnt(0)
	v_xor_b32_e32 v0, 0x80000000, v11
	v_cndmask_b32_e32 v11, v11, v0, vcc
	v_mul_f64 v[0:1], s[30:31], v[10:11]
	v_mul_f64 v[2:3], s[28:29], v[10:11]
	s_andn2_b64 vcc, exec, s[4:5]
	v_fma_f64 v[0:1], s[28:29], v[8:9], -v[0:1]
	v_fmac_f64_e32 v[2:3], s[30:31], v[8:9]
	s_mov_b64 s[4:5], -1
	s_cbranch_vccz .LBB29_4
; %bb.3:
	global_load_dwordx4 v[8:11], v[6:7], off
	s_mov_b64 s[4:5], 0
	s_waitcnt vmcnt(0)
	v_mul_f64 v[12:13], s[2:3], v[10:11]
	v_mul_f64 v[10:11], s[0:1], v[10:11]
	v_fma_f64 v[12:13], s[0:1], v[8:9], -v[12:13]
	v_fmac_f64_e32 v[10:11], s[2:3], v[8:9]
	v_add_f64 v[8:9], v[0:1], v[12:13]
	v_add_f64 v[10:11], v[2:3], v[10:11]
	global_store_dwordx4 v[6:7], v[8:11], off
.LBB29_4:
	s_andn2_b64 vcc, exec, s[4:5]
	s_cbranch_vccnz .LBB29_6
; %bb.5:
	global_store_dwordx4 v[6:7], v[0:3], off
.LBB29_6:
	s_mov_b64 s[4:5], 0
.LBB29_7:
	s_andn2_b64 vcc, exec, s[4:5]
	s_cbranch_vccnz .LBB29_11
; %bb.8:
	v_cmp_neq_f64_e64 s[4:5], s[0:1], 0
	v_cmp_neq_f64_e64 s[10:11], s[2:3], 0
	v_pk_mov_b32 v[0:1], 0, 0
	s_or_b64 s[4:5], s[4:5], s[10:11]
	s_andn2_b64 vcc, exec, s[4:5]
	v_pk_mov_b32 v[2:3], v[0:1], v[0:1] op_sel:[0,1]
	s_cbranch_vccnz .LBB29_10
; %bb.9:
	v_mov_b32_e32 v1, s8
	v_add_co_u32_e32 v0, vcc, s6, v4
	v_addc_co_u32_e32 v1, vcc, v1, v5, vcc
	global_load_dwordx4 v[6:9], v[0:1], off
	s_waitcnt vmcnt(0)
	v_mul_f64 v[0:1], s[2:3], v[8:9]
	v_mul_f64 v[2:3], s[0:1], v[8:9]
	v_fma_f64 v[0:1], s[0:1], v[6:7], -v[0:1]
	v_fmac_f64_e32 v[2:3], s[2:3], v[6:7]
.LBB29_10:
	v_mov_b32_e32 v6, s8
	v_add_co_u32_e32 v4, vcc, s6, v4
	v_addc_co_u32_e32 v5, vcc, v6, v5, vcc
	global_store_dwordx4 v[4:5], v[0:3], off
.LBB29_11:
	s_endpgm
	.section	.rodata,"a",@progbits
	.p2align	6, 0x0
	.amdhsa_kernel _ZL27rocblas_geam_inplace_deviceILi16ELi16EPK19rocblas_complex_numIdES3_PS1_Ev18rocblas_operation_iiT1_S6_T2_lllT3_llli
		.amdhsa_group_segment_fixed_size 0
		.amdhsa_private_segment_fixed_size 0
		.amdhsa_kernarg_size 100
		.amdhsa_user_sgpr_count 6
		.amdhsa_user_sgpr_private_segment_buffer 1
		.amdhsa_user_sgpr_dispatch_ptr 0
		.amdhsa_user_sgpr_queue_ptr 0
		.amdhsa_user_sgpr_kernarg_segment_ptr 1
		.amdhsa_user_sgpr_dispatch_id 0
		.amdhsa_user_sgpr_flat_scratch_init 0
		.amdhsa_user_sgpr_kernarg_preload_length 0
		.amdhsa_user_sgpr_kernarg_preload_offset 0
		.amdhsa_user_sgpr_private_segment_size 0
		.amdhsa_uses_dynamic_stack 0
		.amdhsa_system_sgpr_private_segment_wavefront_offset 0
		.amdhsa_system_sgpr_workgroup_id_x 1
		.amdhsa_system_sgpr_workgroup_id_y 0
		.amdhsa_system_sgpr_workgroup_id_z 1
		.amdhsa_system_sgpr_workgroup_info 0
		.amdhsa_system_vgpr_workitem_id 1
		.amdhsa_next_free_vgpr 14
		.amdhsa_next_free_sgpr 40
		.amdhsa_accum_offset 16
		.amdhsa_reserve_vcc 1
		.amdhsa_reserve_flat_scratch 0
		.amdhsa_float_round_mode_32 0
		.amdhsa_float_round_mode_16_64 0
		.amdhsa_float_denorm_mode_32 3
		.amdhsa_float_denorm_mode_16_64 3
		.amdhsa_dx10_clamp 1
		.amdhsa_ieee_mode 1
		.amdhsa_fp16_overflow 0
		.amdhsa_tg_split 0
		.amdhsa_exception_fp_ieee_invalid_op 0
		.amdhsa_exception_fp_denorm_src 0
		.amdhsa_exception_fp_ieee_div_zero 0
		.amdhsa_exception_fp_ieee_overflow 0
		.amdhsa_exception_fp_ieee_underflow 0
		.amdhsa_exception_fp_ieee_inexact 0
		.amdhsa_exception_int_div_zero 0
	.end_amdhsa_kernel
	.section	.text._ZL27rocblas_geam_inplace_deviceILi16ELi16EPK19rocblas_complex_numIdES3_PS1_Ev18rocblas_operation_iiT1_S6_T2_lllT3_llli,"axG",@progbits,_ZL27rocblas_geam_inplace_deviceILi16ELi16EPK19rocblas_complex_numIdES3_PS1_Ev18rocblas_operation_iiT1_S6_T2_lllT3_llli,comdat
.Lfunc_end29:
	.size	_ZL27rocblas_geam_inplace_deviceILi16ELi16EPK19rocblas_complex_numIdES3_PS1_Ev18rocblas_operation_iiT1_S6_T2_lllT3_llli, .Lfunc_end29-_ZL27rocblas_geam_inplace_deviceILi16ELi16EPK19rocblas_complex_numIdES3_PS1_Ev18rocblas_operation_iiT1_S6_T2_lllT3_llli
                                        ; -- End function
	.section	.AMDGPU.csdata,"",@progbits
; Kernel info:
; codeLenInByte = 796
; NumSgprs: 44
; NumVgprs: 14
; NumAgprs: 0
; TotalNumVgprs: 14
; ScratchSize: 0
; MemoryBound: 0
; FloatMode: 240
; IeeeMode: 1
; LDSByteSize: 0 bytes/workgroup (compile time only)
; SGPRBlocks: 5
; VGPRBlocks: 1
; NumSGPRsForWavesPerEU: 44
; NumVGPRsForWavesPerEU: 14
; AccumOffset: 16
; Occupancy: 8
; WaveLimiterHint : 0
; COMPUTE_PGM_RSRC2:SCRATCH_EN: 0
; COMPUTE_PGM_RSRC2:USER_SGPR: 6
; COMPUTE_PGM_RSRC2:TRAP_HANDLER: 0
; COMPUTE_PGM_RSRC2:TGID_X_EN: 1
; COMPUTE_PGM_RSRC2:TGID_Y_EN: 0
; COMPUTE_PGM_RSRC2:TGID_Z_EN: 1
; COMPUTE_PGM_RSRC2:TIDIG_COMP_CNT: 1
; COMPUTE_PGM_RSRC3_GFX90A:ACCUM_OFFSET: 3
; COMPUTE_PGM_RSRC3_GFX90A:TG_SPLIT: 0
	.section	.text._ZL30rocblas_geam_1D_2matrix_deviceILi256E19rocblas_complex_numIdEPKS1_PS1_EvmT0_T1_llT2_lli,"axG",@progbits,_ZL30rocblas_geam_1D_2matrix_deviceILi256E19rocblas_complex_numIdEPKS1_PS1_EvmT0_T1_llT2_lli,comdat
	.globl	_ZL30rocblas_geam_1D_2matrix_deviceILi256E19rocblas_complex_numIdEPKS1_PS1_EvmT0_T1_llT2_lli ; -- Begin function _ZL30rocblas_geam_1D_2matrix_deviceILi256E19rocblas_complex_numIdEPKS1_PS1_EvmT0_T1_llT2_lli
	.p2align	8
	.type	_ZL30rocblas_geam_1D_2matrix_deviceILi256E19rocblas_complex_numIdEPKS1_PS1_EvmT0_T1_llT2_lli,@function
_ZL30rocblas_geam_1D_2matrix_deviceILi256E19rocblas_complex_numIdEPKS1_PS1_EvmT0_T1_llT2_lli: ; @_ZL30rocblas_geam_1D_2matrix_deviceILi256E19rocblas_complex_numIdEPKS1_PS1_EvmT0_T1_llT2_lli
; %bb.0:
	s_load_dword s0, s[4:5], 0x5c
	s_load_dwordx16 s[8:23], s[4:5], 0x0
	v_mov_b32_e32 v1, 0
	v_mov_b32_e32 v2, s6
	s_waitcnt lgkmcnt(0)
	s_and_b32 s0, s0, 0xffff
	v_mad_u64_u32 v[2:3], s[0:1], s0, v2, v[0:1]
	v_cmp_gt_u64_e32 vcc, s[8:9], v[2:3]
	s_and_saveexec_b64 s[0:1], vcc
	s_cbranch_execz .LBB30_4
; %bb.1:
	v_cmp_eq_f64_e64 s[0:1], s[10:11], 0
	v_cmp_eq_f64_e64 s[2:3], s[12:13], 0
	v_pk_mov_b32 v[0:1], 0, 0
	s_and_b64 s[0:1], s[0:1], s[2:3]
	s_and_b64 vcc, exec, s[0:1]
	v_lshlrev_b64 v[4:5], 4, v[2:3]
	v_pk_mov_b32 v[2:3], v[0:1], v[0:1] op_sel:[0,1]
	s_cbranch_vccnz .LBB30_3
; %bb.2:
	s_mul_i32 s0, s7, s19
	s_mul_hi_u32 s1, s7, s18
	s_add_i32 s1, s1, s0
	s_mul_i32 s0, s7, s18
	s_lshl_b64 s[0:1], s[0:1], 4
	s_add_u32 s2, s14, s0
	s_addc_u32 s3, s15, s1
	s_lshl_b64 s[0:1], s[16:17], 4
	s_add_u32 s0, s2, s0
	s_addc_u32 s1, s3, s1
	v_mov_b32_e32 v1, s1
	v_add_co_u32_e32 v0, vcc, s0, v4
	v_addc_co_u32_e32 v1, vcc, v1, v5, vcc
	global_load_dwordx4 v[6:9], v[0:1], off
	s_waitcnt vmcnt(0)
	v_mul_f64 v[0:1], s[12:13], v[8:9]
	v_mul_f64 v[2:3], s[10:11], v[8:9]
	v_fma_f64 v[0:1], s[10:11], v[6:7], -v[0:1]
	v_fmac_f64_e32 v[2:3], s[12:13], v[6:7]
.LBB30_3:
	s_load_dwordx2 s[0:1], s[4:5], 0x40
	s_waitcnt lgkmcnt(0)
	s_mul_i32 s1, s7, s1
	s_mul_hi_u32 s2, s7, s0
	s_mul_i32 s0, s7, s0
	s_add_i32 s1, s2, s1
	s_lshl_b64 s[0:1], s[0:1], 4
	s_add_u32 s2, s20, s0
	s_addc_u32 s3, s21, s1
	s_lshl_b64 s[0:1], s[22:23], 4
	s_add_u32 s0, s2, s0
	s_addc_u32 s1, s3, s1
	v_mov_b32_e32 v6, s1
	v_add_co_u32_e32 v4, vcc, s0, v4
	v_addc_co_u32_e32 v5, vcc, v6, v5, vcc
	global_store_dwordx4 v[4:5], v[0:3], off
.LBB30_4:
	s_endpgm
	.section	.rodata,"a",@progbits
	.p2align	6, 0x0
	.amdhsa_kernel _ZL30rocblas_geam_1D_2matrix_deviceILi256E19rocblas_complex_numIdEPKS1_PS1_EvmT0_T1_llT2_lli
		.amdhsa_group_segment_fixed_size 0
		.amdhsa_private_segment_fixed_size 0
		.amdhsa_kernarg_size 336
		.amdhsa_user_sgpr_count 6
		.amdhsa_user_sgpr_private_segment_buffer 1
		.amdhsa_user_sgpr_dispatch_ptr 0
		.amdhsa_user_sgpr_queue_ptr 0
		.amdhsa_user_sgpr_kernarg_segment_ptr 1
		.amdhsa_user_sgpr_dispatch_id 0
		.amdhsa_user_sgpr_flat_scratch_init 0
		.amdhsa_user_sgpr_kernarg_preload_length 0
		.amdhsa_user_sgpr_kernarg_preload_offset 0
		.amdhsa_user_sgpr_private_segment_size 0
		.amdhsa_uses_dynamic_stack 0
		.amdhsa_system_sgpr_private_segment_wavefront_offset 0
		.amdhsa_system_sgpr_workgroup_id_x 1
		.amdhsa_system_sgpr_workgroup_id_y 0
		.amdhsa_system_sgpr_workgroup_id_z 1
		.amdhsa_system_sgpr_workgroup_info 0
		.amdhsa_system_vgpr_workitem_id 0
		.amdhsa_next_free_vgpr 10
		.amdhsa_next_free_sgpr 24
		.amdhsa_accum_offset 12
		.amdhsa_reserve_vcc 1
		.amdhsa_reserve_flat_scratch 0
		.amdhsa_float_round_mode_32 0
		.amdhsa_float_round_mode_16_64 0
		.amdhsa_float_denorm_mode_32 3
		.amdhsa_float_denorm_mode_16_64 3
		.amdhsa_dx10_clamp 1
		.amdhsa_ieee_mode 1
		.amdhsa_fp16_overflow 0
		.amdhsa_tg_split 0
		.amdhsa_exception_fp_ieee_invalid_op 0
		.amdhsa_exception_fp_denorm_src 0
		.amdhsa_exception_fp_ieee_div_zero 0
		.amdhsa_exception_fp_ieee_overflow 0
		.amdhsa_exception_fp_ieee_underflow 0
		.amdhsa_exception_fp_ieee_inexact 0
		.amdhsa_exception_int_div_zero 0
	.end_amdhsa_kernel
	.section	.text._ZL30rocblas_geam_1D_2matrix_deviceILi256E19rocblas_complex_numIdEPKS1_PS1_EvmT0_T1_llT2_lli,"axG",@progbits,_ZL30rocblas_geam_1D_2matrix_deviceILi256E19rocblas_complex_numIdEPKS1_PS1_EvmT0_T1_llT2_lli,comdat
.Lfunc_end30:
	.size	_ZL30rocblas_geam_1D_2matrix_deviceILi256E19rocblas_complex_numIdEPKS1_PS1_EvmT0_T1_llT2_lli, .Lfunc_end30-_ZL30rocblas_geam_1D_2matrix_deviceILi256E19rocblas_complex_numIdEPKS1_PS1_EvmT0_T1_llT2_lli
                                        ; -- End function
	.section	.AMDGPU.csdata,"",@progbits
; Kernel info:
; codeLenInByte = 276
; NumSgprs: 28
; NumVgprs: 10
; NumAgprs: 0
; TotalNumVgprs: 10
; ScratchSize: 0
; MemoryBound: 0
; FloatMode: 240
; IeeeMode: 1
; LDSByteSize: 0 bytes/workgroup (compile time only)
; SGPRBlocks: 3
; VGPRBlocks: 1
; NumSGPRsForWavesPerEU: 28
; NumVGPRsForWavesPerEU: 10
; AccumOffset: 12
; Occupancy: 8
; WaveLimiterHint : 0
; COMPUTE_PGM_RSRC2:SCRATCH_EN: 0
; COMPUTE_PGM_RSRC2:USER_SGPR: 6
; COMPUTE_PGM_RSRC2:TRAP_HANDLER: 0
; COMPUTE_PGM_RSRC2:TGID_X_EN: 1
; COMPUTE_PGM_RSRC2:TGID_Y_EN: 0
; COMPUTE_PGM_RSRC2:TGID_Z_EN: 1
; COMPUTE_PGM_RSRC2:TIDIG_COMP_CNT: 0
; COMPUTE_PGM_RSRC3_GFX90A:ACCUM_OFFSET: 2
; COMPUTE_PGM_RSRC3_GFX90A:TG_SPLIT: 0
	.section	.text._ZL27rocblas_geam_2matrix_deviceILi16ELi16E19rocblas_complex_numIdEPKS1_PS1_Ev18rocblas_operation_iiT1_T2_lllT3_llli,"axG",@progbits,_ZL27rocblas_geam_2matrix_deviceILi16ELi16E19rocblas_complex_numIdEPKS1_PS1_Ev18rocblas_operation_iiT1_T2_lllT3_llli,comdat
	.globl	_ZL27rocblas_geam_2matrix_deviceILi16ELi16E19rocblas_complex_numIdEPKS1_PS1_Ev18rocblas_operation_iiT1_T2_lllT3_llli ; -- Begin function _ZL27rocblas_geam_2matrix_deviceILi16ELi16E19rocblas_complex_numIdEPKS1_PS1_Ev18rocblas_operation_iiT1_T2_lllT3_llli
	.p2align	8
	.type	_ZL27rocblas_geam_2matrix_deviceILi16ELi16E19rocblas_complex_numIdEPKS1_PS1_Ev18rocblas_operation_iiT1_T2_lllT3_llli,@function
_ZL27rocblas_geam_2matrix_deviceILi16ELi16E19rocblas_complex_numIdEPKS1_PS1_Ev18rocblas_operation_iiT1_T2_lllT3_llli: ; @_ZL27rocblas_geam_2matrix_deviceILi16ELi16E19rocblas_complex_numIdEPKS1_PS1_Ev18rocblas_operation_iiT1_T2_lllT3_llli
; %bb.0:
	s_load_dwordx4 s[24:27], s[4:5], 0x0
	v_and_b32_e32 v2, 0x3ff, v0
	v_bfe_u32 v0, v0, 10, 10
	s_waitcnt lgkmcnt(0)
	s_add_i32 s0, s25, -1
	s_ashr_i32 s1, s0, 31
	s_lshr_b32 s1, s1, 28
	s_add_i32 s0, s0, s1
	s_ashr_i32 s0, s0, 4
	s_add_i32 s1, s0, 1
	v_cvt_f32_u32_e32 v1, s1
	s_not_b32 s0, s0
	v_rcp_iflag_f32_e32 v1, v1
	v_mul_f32_e32 v1, 0x4f7ffffe, v1
	v_cvt_u32_f32_e32 v1, v1
	v_readfirstlane_b32 s2, v1
	s_mul_i32 s0, s0, s2
	s_mul_hi_u32 s0, s2, s0
	s_add_i32 s2, s2, s0
	s_mul_hi_u32 s0, s6, s2
	s_mul_i32 s2, s0, s1
	s_sub_i32 s2, s6, s2
	s_add_i32 s3, s0, 1
	s_sub_i32 s8, s2, s1
	s_cmp_ge_u32 s2, s1
	s_cselect_b32 s0, s3, s0
	s_cselect_b32 s2, s8, s2
	s_add_i32 s3, s0, 1
	s_cmp_ge_u32 s2, s1
	s_cselect_b32 s0, s3, s0
	s_mul_i32 s1, s0, s1
	v_lshl_add_u32 v6, s0, 4, v0
	s_sub_i32 s0, s6, s1
	v_lshl_add_u32 v4, s0, 4, v2
	v_cmp_gt_i32_e32 vcc, s25, v4
	v_cmp_gt_i32_e64 s[0:1], s26, v6
	s_and_b64 s[0:1], vcc, s[0:1]
	s_and_saveexec_b64 s[2:3], s[0:1]
	s_cbranch_execz .LBB31_4
; %bb.1:
	s_load_dwordx16 s[8:23], s[4:5], 0x10
	v_pk_mov_b32 v[0:1], 0, 0
	v_ashrrev_i32_e32 v5, 31, v4
	v_ashrrev_i32_e32 v7, 31, v6
	v_pk_mov_b32 v[2:3], v[0:1], v[0:1] op_sel:[0,1]
	s_waitcnt lgkmcnt(0)
	v_cmp_eq_f64_e64 s[0:1], s[8:9], 0
	v_cmp_eq_f64_e64 s[2:3], s[10:11], 0
	s_and_b64 s[0:1], s[0:1], s[2:3]
	s_and_b64 vcc, exec, s[0:1]
	s_cbranch_vccnz .LBB31_3
; %bb.2:
	s_mul_i32 s0, s7, s19
	s_mul_hi_u32 s1, s7, s18
	s_add_i32 s1, s1, s0
	s_mul_i32 s0, s7, s18
	s_lshl_b64 s[0:1], s[0:1], 4
	s_add_u32 s2, s12, s0
	s_addc_u32 s3, s13, s1
	s_lshl_b64 s[0:1], s[14:15], 4
	s_add_u32 s2, s2, s0
	s_addc_u32 s3, s3, s1
	s_cmpk_eq_i32 s24, 0x6f
	s_cselect_b64 vcc, -1, 0
	v_cndmask_b32_e32 v2, v4, v6, vcc
	v_cndmask_b32_e32 v3, v5, v7, vcc
	v_mul_lo_u32 v8, v3, s16
	v_mul_lo_u32 v9, v2, s17
	v_mad_u64_u32 v[2:3], s[0:1], v2, s16, 0
	v_add3_u32 v3, v3, v9, v8
	v_lshlrev_b64 v[2:3], 4, v[2:3]
	v_cndmask_b32_e32 v1, v7, v5, vcc
	v_cndmask_b32_e32 v0, v6, v4, vcc
	v_mov_b32_e32 v8, s3
	v_add_co_u32_e32 v2, vcc, s2, v2
	v_addc_co_u32_e32 v3, vcc, v8, v3, vcc
	v_lshlrev_b64 v[0:1], 4, v[0:1]
	v_add_co_u32_e32 v0, vcc, v2, v0
	v_addc_co_u32_e32 v1, vcc, v3, v1, vcc
	global_load_dwordx4 v[8:11], v[0:1], off
	s_cmpk_eq_i32 s24, 0x71
	s_cselect_b64 vcc, -1, 0
	s_waitcnt vmcnt(0)
	v_xor_b32_e32 v0, 0x80000000, v11
	v_cndmask_b32_e32 v11, v11, v0, vcc
	v_mul_f64 v[0:1], s[10:11], v[10:11]
	v_mul_f64 v[2:3], s[8:9], v[10:11]
	v_fma_f64 v[0:1], s[8:9], v[8:9], -v[0:1]
	v_fmac_f64_e32 v[2:3], s[10:11], v[8:9]
.LBB31_3:
	s_load_dwordx4 s[0:3], s[4:5], 0x50
	v_lshlrev_b64 v[4:5], 4, v[4:5]
	s_waitcnt lgkmcnt(0)
	s_mul_i32 s3, s7, s3
	s_mul_hi_u32 s4, s7, s2
	s_mul_i32 s2, s7, s2
	s_add_i32 s3, s4, s3
	s_lshl_b64 s[2:3], s[2:3], 4
	s_add_u32 s4, s20, s2
	v_mul_lo_u32 v8, v7, s0
	s_addc_u32 s5, s21, s3
	s_lshl_b64 s[2:3], s[22:23], 4
	v_mul_lo_u32 v9, v6, s1
	v_mad_u64_u32 v[6:7], s[0:1], v6, s0, 0
	s_add_u32 s2, s4, s2
	v_add3_u32 v7, v7, v9, v8
	s_addc_u32 s3, s5, s3
	v_lshlrev_b64 v[6:7], 4, v[6:7]
	v_mov_b32_e32 v8, s3
	v_add_co_u32_e32 v6, vcc, s2, v6
	v_addc_co_u32_e32 v7, vcc, v8, v7, vcc
	v_add_co_u32_e32 v4, vcc, v6, v4
	v_addc_co_u32_e32 v5, vcc, v7, v5, vcc
	global_store_dwordx4 v[4:5], v[0:3], off
.LBB31_4:
	s_endpgm
	.section	.rodata,"a",@progbits
	.p2align	6, 0x0
	.amdhsa_kernel _ZL27rocblas_geam_2matrix_deviceILi16ELi16E19rocblas_complex_numIdEPKS1_PS1_Ev18rocblas_operation_iiT1_T2_lllT3_llli
		.amdhsa_group_segment_fixed_size 0
		.amdhsa_private_segment_fixed_size 0
		.amdhsa_kernarg_size 100
		.amdhsa_user_sgpr_count 6
		.amdhsa_user_sgpr_private_segment_buffer 1
		.amdhsa_user_sgpr_dispatch_ptr 0
		.amdhsa_user_sgpr_queue_ptr 0
		.amdhsa_user_sgpr_kernarg_segment_ptr 1
		.amdhsa_user_sgpr_dispatch_id 0
		.amdhsa_user_sgpr_flat_scratch_init 0
		.amdhsa_user_sgpr_kernarg_preload_length 0
		.amdhsa_user_sgpr_kernarg_preload_offset 0
		.amdhsa_user_sgpr_private_segment_size 0
		.amdhsa_uses_dynamic_stack 0
		.amdhsa_system_sgpr_private_segment_wavefront_offset 0
		.amdhsa_system_sgpr_workgroup_id_x 1
		.amdhsa_system_sgpr_workgroup_id_y 0
		.amdhsa_system_sgpr_workgroup_id_z 1
		.amdhsa_system_sgpr_workgroup_info 0
		.amdhsa_system_vgpr_workitem_id 1
		.amdhsa_next_free_vgpr 12
		.amdhsa_next_free_sgpr 28
		.amdhsa_accum_offset 12
		.amdhsa_reserve_vcc 1
		.amdhsa_reserve_flat_scratch 0
		.amdhsa_float_round_mode_32 0
		.amdhsa_float_round_mode_16_64 0
		.amdhsa_float_denorm_mode_32 3
		.amdhsa_float_denorm_mode_16_64 3
		.amdhsa_dx10_clamp 1
		.amdhsa_ieee_mode 1
		.amdhsa_fp16_overflow 0
		.amdhsa_tg_split 0
		.amdhsa_exception_fp_ieee_invalid_op 0
		.amdhsa_exception_fp_denorm_src 0
		.amdhsa_exception_fp_ieee_div_zero 0
		.amdhsa_exception_fp_ieee_overflow 0
		.amdhsa_exception_fp_ieee_underflow 0
		.amdhsa_exception_fp_ieee_inexact 0
		.amdhsa_exception_int_div_zero 0
	.end_amdhsa_kernel
	.section	.text._ZL27rocblas_geam_2matrix_deviceILi16ELi16E19rocblas_complex_numIdEPKS1_PS1_Ev18rocblas_operation_iiT1_T2_lllT3_llli,"axG",@progbits,_ZL27rocblas_geam_2matrix_deviceILi16ELi16E19rocblas_complex_numIdEPKS1_PS1_Ev18rocblas_operation_iiT1_T2_lllT3_llli,comdat
.Lfunc_end31:
	.size	_ZL27rocblas_geam_2matrix_deviceILi16ELi16E19rocblas_complex_numIdEPKS1_PS1_Ev18rocblas_operation_iiT1_T2_lllT3_llli, .Lfunc_end31-_ZL27rocblas_geam_2matrix_deviceILi16ELi16E19rocblas_complex_numIdEPKS1_PS1_Ev18rocblas_operation_iiT1_T2_lllT3_llli
                                        ; -- End function
	.section	.AMDGPU.csdata,"",@progbits
; Kernel info:
; codeLenInByte = 572
; NumSgprs: 32
; NumVgprs: 12
; NumAgprs: 0
; TotalNumVgprs: 12
; ScratchSize: 0
; MemoryBound: 0
; FloatMode: 240
; IeeeMode: 1
; LDSByteSize: 0 bytes/workgroup (compile time only)
; SGPRBlocks: 3
; VGPRBlocks: 1
; NumSGPRsForWavesPerEU: 32
; NumVGPRsForWavesPerEU: 12
; AccumOffset: 12
; Occupancy: 8
; WaveLimiterHint : 0
; COMPUTE_PGM_RSRC2:SCRATCH_EN: 0
; COMPUTE_PGM_RSRC2:USER_SGPR: 6
; COMPUTE_PGM_RSRC2:TRAP_HANDLER: 0
; COMPUTE_PGM_RSRC2:TGID_X_EN: 1
; COMPUTE_PGM_RSRC2:TGID_Y_EN: 0
; COMPUTE_PGM_RSRC2:TGID_Z_EN: 1
; COMPUTE_PGM_RSRC2:TIDIG_COMP_CNT: 1
; COMPUTE_PGM_RSRC3_GFX90A:ACCUM_OFFSET: 2
; COMPUTE_PGM_RSRC3_GFX90A:TG_SPLIT: 0
	.section	.text._ZL22rocblas_geam_1D_deviceILi256E19rocblas_complex_numIdEPKS1_PS1_EvmT0_T1_llS5_S6_llT2_lli,"axG",@progbits,_ZL22rocblas_geam_1D_deviceILi256E19rocblas_complex_numIdEPKS1_PS1_EvmT0_T1_llS5_S6_llT2_lli,comdat
	.globl	_ZL22rocblas_geam_1D_deviceILi256E19rocblas_complex_numIdEPKS1_PS1_EvmT0_T1_llS5_S6_llT2_lli ; -- Begin function _ZL22rocblas_geam_1D_deviceILi256E19rocblas_complex_numIdEPKS1_PS1_EvmT0_T1_llS5_S6_llT2_lli
	.p2align	8
	.type	_ZL22rocblas_geam_1D_deviceILi256E19rocblas_complex_numIdEPKS1_PS1_EvmT0_T1_llS5_S6_llT2_lli,@function
_ZL22rocblas_geam_1D_deviceILi256E19rocblas_complex_numIdEPKS1_PS1_EvmT0_T1_llS5_S6_llT2_lli: ; @_ZL22rocblas_geam_1D_deviceILi256E19rocblas_complex_numIdEPKS1_PS1_EvmT0_T1_llS5_S6_llT2_lli
; %bb.0:
	s_load_dword s0, s[4:5], 0x84
	s_load_dwordx16 s[8:23], s[4:5], 0x0
	v_mov_b32_e32 v1, 0
	v_mov_b32_e32 v2, s6
	s_waitcnt lgkmcnt(0)
	s_and_b32 s0, s0, 0xffff
	v_mad_u64_u32 v[4:5], s[0:1], s0, v2, v[0:1]
	v_cmp_gt_u64_e32 vcc, s[8:9], v[4:5]
	s_and_saveexec_b64 s[0:1], vcc
	s_cbranch_execz .LBB32_10
; %bb.1:
	s_load_dwordx8 s[24:31], s[4:5], 0x40
	s_load_dwordx4 s[0:3], s[4:5], 0x60
	v_cmp_eq_f64_e64 s[8:9], s[10:11], 0
	v_cmp_eq_f64_e64 s[34:35], s[12:13], 0
	s_and_b64 s[8:9], s[8:9], s[34:35]
	s_mov_b64 s[4:5], 0
	s_andn2_b64 vcc, exec, s[8:9]
	v_cmp_neq_f64_e64 s[8:9], s[20:21], 0
	v_cmp_neq_f64_e64 s[34:35], s[22:23], 0
	s_cbranch_vccnz .LBB32_3
; %bb.2:
	s_or_b64 s[8:9], s[8:9], s[34:35]
	s_andn2_b64 vcc, exec, s[8:9]
	v_pk_mov_b32 v[2:3], s[4:5], s[4:5] op_sel:[0,1]
	v_pk_mov_b32 v[0:1], s[4:5], s[4:5] op_sel:[0,1]
	s_cbranch_vccz .LBB32_4
	s_branch .LBB32_9
.LBB32_3:
                                        ; implicit-def: $sgpr4_sgpr5
	v_pk_mov_b32 v[2:3], s[4:5], s[4:5] op_sel:[0,1]
	v_pk_mov_b32 v[0:1], s[4:5], s[4:5] op_sel:[0,1]
.LBB32_4:
	v_cmp_neq_f64_e64 s[4:5], s[20:21], 0
	v_cmp_neq_f64_e64 s[8:9], s[22:23], 0
	v_pk_mov_b32 v[2:3], 0, 0
	s_or_b64 s[4:5], s[4:5], s[8:9]
	s_andn2_b64 vcc, exec, s[4:5]
	v_pk_mov_b32 v[6:7], v[2:3], v[2:3] op_sel:[0,1]
	v_pk_mov_b32 v[0:1], v[2:3], v[2:3] op_sel:[0,1]
	s_cbranch_vccnz .LBB32_6
; %bb.5:
	s_waitcnt lgkmcnt(0)
	s_mul_i32 s4, s7, s29
	s_mul_hi_u32 s5, s7, s28
	s_add_i32 s5, s5, s4
	s_mul_i32 s4, s7, s28
	s_lshl_b64 s[4:5], s[4:5], 4
	s_add_u32 s6, s24, s4
	s_addc_u32 s8, s25, s5
	s_lshl_b64 s[4:5], s[26:27], 4
	s_add_u32 s4, s6, s4
	s_addc_u32 s5, s8, s5
	v_lshlrev_b64 v[0:1], 4, v[4:5]
	v_mov_b32_e32 v6, s5
	v_add_co_u32_e32 v0, vcc, s4, v0
	v_addc_co_u32_e32 v1, vcc, v6, v1, vcc
	global_load_dwordx4 v[8:11], v[0:1], off
	s_waitcnt vmcnt(0)
	v_mul_f64 v[0:1], s[22:23], v[10:11]
	v_mul_f64 v[6:7], s[20:21], v[10:11]
	v_fma_f64 v[0:1], s[20:21], v[8:9], -v[0:1]
	v_fmac_f64_e32 v[6:7], s[22:23], v[8:9]
.LBB32_6:
	v_cmp_neq_f64_e64 s[4:5], s[10:11], 0
	v_cmp_neq_f64_e64 s[8:9], s[12:13], 0
	s_or_b64 s[4:5], s[4:5], s[8:9]
	s_andn2_b64 vcc, exec, s[4:5]
	v_pk_mov_b32 v[8:9], v[2:3], v[2:3] op_sel:[0,1]
	s_cbranch_vccnz .LBB32_8
; %bb.7:
	s_mul_i32 s4, s7, s19
	s_mul_hi_u32 s5, s7, s18
	s_add_i32 s5, s5, s4
	s_mul_i32 s4, s7, s18
	s_lshl_b64 s[4:5], s[4:5], 4
	s_add_u32 s6, s14, s4
	s_addc_u32 s8, s15, s5
	s_lshl_b64 s[4:5], s[16:17], 4
	s_add_u32 s4, s6, s4
	s_addc_u32 s5, s8, s5
	v_lshlrev_b64 v[2:3], 4, v[4:5]
	v_mov_b32_e32 v8, s5
	v_add_co_u32_e32 v2, vcc, s4, v2
	v_addc_co_u32_e32 v3, vcc, v8, v3, vcc
	global_load_dwordx4 v[10:13], v[2:3], off
	s_waitcnt vmcnt(0)
	v_mul_f64 v[8:9], s[12:13], v[12:13]
	v_mul_f64 v[2:3], s[10:11], v[12:13]
	v_fma_f64 v[8:9], s[10:11], v[10:11], -v[8:9]
	v_fmac_f64_e32 v[2:3], s[12:13], v[10:11]
.LBB32_8:
	v_add_f64 v[0:1], v[0:1], v[8:9]
	v_add_f64 v[2:3], v[6:7], v[2:3]
.LBB32_9:
	s_waitcnt lgkmcnt(0)
	s_mul_i32 s3, s7, s3
	s_mul_hi_u32 s4, s7, s2
	s_add_i32 s3, s4, s3
	s_mul_i32 s2, s7, s2
	s_lshl_b64 s[2:3], s[2:3], 4
	s_add_u32 s2, s30, s2
	s_addc_u32 s3, s31, s3
	s_lshl_b64 s[0:1], s[0:1], 4
	s_add_u32 s0, s2, s0
	s_addc_u32 s1, s3, s1
	v_lshlrev_b64 v[4:5], 4, v[4:5]
	v_mov_b32_e32 v6, s1
	v_add_co_u32_e32 v4, vcc, s0, v4
	v_addc_co_u32_e32 v5, vcc, v6, v5, vcc
	global_store_dwordx4 v[4:5], v[0:3], off
.LBB32_10:
	s_endpgm
	.section	.rodata,"a",@progbits
	.p2align	6, 0x0
	.amdhsa_kernel _ZL22rocblas_geam_1D_deviceILi256E19rocblas_complex_numIdEPKS1_PS1_EvmT0_T1_llS5_S6_llT2_lli
		.amdhsa_group_segment_fixed_size 0
		.amdhsa_private_segment_fixed_size 0
		.amdhsa_kernarg_size 376
		.amdhsa_user_sgpr_count 6
		.amdhsa_user_sgpr_private_segment_buffer 1
		.amdhsa_user_sgpr_dispatch_ptr 0
		.amdhsa_user_sgpr_queue_ptr 0
		.amdhsa_user_sgpr_kernarg_segment_ptr 1
		.amdhsa_user_sgpr_dispatch_id 0
		.amdhsa_user_sgpr_flat_scratch_init 0
		.amdhsa_user_sgpr_kernarg_preload_length 0
		.amdhsa_user_sgpr_kernarg_preload_offset 0
		.amdhsa_user_sgpr_private_segment_size 0
		.amdhsa_uses_dynamic_stack 0
		.amdhsa_system_sgpr_private_segment_wavefront_offset 0
		.amdhsa_system_sgpr_workgroup_id_x 1
		.amdhsa_system_sgpr_workgroup_id_y 0
		.amdhsa_system_sgpr_workgroup_id_z 1
		.amdhsa_system_sgpr_workgroup_info 0
		.amdhsa_system_vgpr_workitem_id 0
		.amdhsa_next_free_vgpr 14
		.amdhsa_next_free_sgpr 36
		.amdhsa_accum_offset 16
		.amdhsa_reserve_vcc 1
		.amdhsa_reserve_flat_scratch 0
		.amdhsa_float_round_mode_32 0
		.amdhsa_float_round_mode_16_64 0
		.amdhsa_float_denorm_mode_32 3
		.amdhsa_float_denorm_mode_16_64 3
		.amdhsa_dx10_clamp 1
		.amdhsa_ieee_mode 1
		.amdhsa_fp16_overflow 0
		.amdhsa_tg_split 0
		.amdhsa_exception_fp_ieee_invalid_op 0
		.amdhsa_exception_fp_denorm_src 0
		.amdhsa_exception_fp_ieee_div_zero 0
		.amdhsa_exception_fp_ieee_overflow 0
		.amdhsa_exception_fp_ieee_underflow 0
		.amdhsa_exception_fp_ieee_inexact 0
		.amdhsa_exception_int_div_zero 0
	.end_amdhsa_kernel
	.section	.text._ZL22rocblas_geam_1D_deviceILi256E19rocblas_complex_numIdEPKS1_PS1_EvmT0_T1_llS5_S6_llT2_lli,"axG",@progbits,_ZL22rocblas_geam_1D_deviceILi256E19rocblas_complex_numIdEPKS1_PS1_EvmT0_T1_llS5_S6_llT2_lli,comdat
.Lfunc_end32:
	.size	_ZL22rocblas_geam_1D_deviceILi256E19rocblas_complex_numIdEPKS1_PS1_EvmT0_T1_llS5_S6_llT2_lli, .Lfunc_end32-_ZL22rocblas_geam_1D_deviceILi256E19rocblas_complex_numIdEPKS1_PS1_EvmT0_T1_llS5_S6_llT2_lli
                                        ; -- End function
	.section	.AMDGPU.csdata,"",@progbits
; Kernel info:
; codeLenInByte = 552
; NumSgprs: 40
; NumVgprs: 14
; NumAgprs: 0
; TotalNumVgprs: 14
; ScratchSize: 0
; MemoryBound: 0
; FloatMode: 240
; IeeeMode: 1
; LDSByteSize: 0 bytes/workgroup (compile time only)
; SGPRBlocks: 4
; VGPRBlocks: 1
; NumSGPRsForWavesPerEU: 40
; NumVGPRsForWavesPerEU: 14
; AccumOffset: 16
; Occupancy: 8
; WaveLimiterHint : 0
; COMPUTE_PGM_RSRC2:SCRATCH_EN: 0
; COMPUTE_PGM_RSRC2:USER_SGPR: 6
; COMPUTE_PGM_RSRC2:TRAP_HANDLER: 0
; COMPUTE_PGM_RSRC2:TGID_X_EN: 1
; COMPUTE_PGM_RSRC2:TGID_Y_EN: 0
; COMPUTE_PGM_RSRC2:TGID_Z_EN: 1
; COMPUTE_PGM_RSRC2:TIDIG_COMP_CNT: 0
; COMPUTE_PGM_RSRC3_GFX90A:ACCUM_OFFSET: 3
; COMPUTE_PGM_RSRC3_GFX90A:TG_SPLIT: 0
	.section	.text._ZL22rocblas_geam_1D_deviceILi256EPK19rocblas_complex_numIdES3_PS1_EvmT0_T1_llS5_S6_llT2_lli,"axG",@progbits,_ZL22rocblas_geam_1D_deviceILi256EPK19rocblas_complex_numIdES3_PS1_EvmT0_T1_llS5_S6_llT2_lli,comdat
	.globl	_ZL22rocblas_geam_1D_deviceILi256EPK19rocblas_complex_numIdES3_PS1_EvmT0_T1_llS5_S6_llT2_lli ; -- Begin function _ZL22rocblas_geam_1D_deviceILi256EPK19rocblas_complex_numIdES3_PS1_EvmT0_T1_llS5_S6_llT2_lli
	.p2align	8
	.type	_ZL22rocblas_geam_1D_deviceILi256EPK19rocblas_complex_numIdES3_PS1_EvmT0_T1_llS5_S6_llT2_lli,@function
_ZL22rocblas_geam_1D_deviceILi256EPK19rocblas_complex_numIdES3_PS1_EvmT0_T1_llS5_S6_llT2_lli: ; @_ZL22rocblas_geam_1D_deviceILi256EPK19rocblas_complex_numIdES3_PS1_EvmT0_T1_llS5_S6_llT2_lli
; %bb.0:
	s_load_dword s0, s[4:5], 0x74
	s_load_dwordx16 s[8:23], s[4:5], 0x0
	v_mov_b32_e32 v1, 0
	v_mov_b32_e32 v2, s6
	s_waitcnt lgkmcnt(0)
	s_and_b32 s0, s0, 0xffff
	v_mad_u64_u32 v[4:5], s[0:1], s0, v2, v[0:1]
	v_cmp_gt_u64_e32 vcc, s[8:9], v[4:5]
	s_and_saveexec_b64 s[0:1], vcc
	s_cbranch_execz .LBB33_11
; %bb.1:
	s_load_dwordx4 s[0:3], s[10:11], 0x0
	s_load_dwordx4 s[36:39], s[18:19], 0x0
	s_mov_b64 s[8:9], 0
	s_waitcnt lgkmcnt(0)
	v_cmp_eq_f64_e64 s[10:11], s[0:1], 0
	v_cmp_eq_f64_e64 s[18:19], s[2:3], 0
	s_and_b64 s[10:11], s[10:11], s[18:19]
	s_andn2_b64 vcc, exec, s[10:11]
	v_cmp_neq_f64_e64 s[10:11], s[36:37], 0
	v_cmp_neq_f64_e64 s[18:19], s[38:39], 0
	s_cbranch_vccnz .LBB33_3
; %bb.2:
	s_or_b64 s[10:11], s[10:11], s[18:19]
	s_branch .LBB33_4
.LBB33_3:
	s_mov_b64 s[10:11], -1
                                        ; implicit-def: $sgpr8_sgpr9
.LBB33_4:
	s_load_dwordx8 s[24:31], s[4:5], 0x40
	s_andn2_b64 vcc, exec, s[10:11]
	v_pk_mov_b32 v[2:3], s[8:9], s[8:9] op_sel:[0,1]
	v_pk_mov_b32 v[0:1], s[8:9], s[8:9] op_sel:[0,1]
	s_cbranch_vccnz .LBB33_10
; %bb.5:
	v_cmp_neq_f64_e64 s[4:5], s[36:37], 0
	v_cmp_neq_f64_e64 s[8:9], s[38:39], 0
	v_pk_mov_b32 v[2:3], 0, 0
	s_or_b64 s[4:5], s[4:5], s[8:9]
	s_andn2_b64 vcc, exec, s[4:5]
	v_pk_mov_b32 v[6:7], v[2:3], v[2:3] op_sel:[0,1]
	v_pk_mov_b32 v[0:1], v[2:3], v[2:3] op_sel:[0,1]
	s_cbranch_vccnz .LBB33_7
; %bb.6:
	s_waitcnt lgkmcnt(0)
	s_mul_i32 s4, s7, s25
	s_mul_hi_u32 s5, s7, s24
	s_add_i32 s5, s5, s4
	s_mul_i32 s4, s7, s24
	s_lshl_b64 s[4:5], s[4:5], 4
	s_add_u32 s6, s20, s4
	s_addc_u32 s8, s21, s5
	s_lshl_b64 s[4:5], s[22:23], 4
	s_add_u32 s4, s6, s4
	s_addc_u32 s5, s8, s5
	v_lshlrev_b64 v[0:1], 4, v[4:5]
	v_mov_b32_e32 v6, s5
	v_add_co_u32_e32 v0, vcc, s4, v0
	v_addc_co_u32_e32 v1, vcc, v6, v1, vcc
	global_load_dwordx4 v[8:11], v[0:1], off
	s_waitcnt vmcnt(0)
	v_mul_f64 v[0:1], s[38:39], v[10:11]
	v_mul_f64 v[6:7], s[36:37], v[10:11]
	v_fma_f64 v[0:1], s[36:37], v[8:9], -v[0:1]
	v_fmac_f64_e32 v[6:7], s[38:39], v[8:9]
.LBB33_7:
	v_cmp_neq_f64_e64 s[4:5], s[0:1], 0
	v_cmp_neq_f64_e64 s[8:9], s[2:3], 0
	s_or_b64 s[4:5], s[4:5], s[8:9]
	s_andn2_b64 vcc, exec, s[4:5]
	v_pk_mov_b32 v[8:9], v[2:3], v[2:3] op_sel:[0,1]
	s_cbranch_vccnz .LBB33_9
; %bb.8:
	s_mul_i32 s4, s7, s17
	s_mul_hi_u32 s5, s7, s16
	s_add_i32 s5, s5, s4
	s_mul_i32 s4, s7, s16
	s_lshl_b64 s[4:5], s[4:5], 4
	s_add_u32 s6, s12, s4
	s_addc_u32 s8, s13, s5
	s_lshl_b64 s[4:5], s[14:15], 4
	s_add_u32 s4, s6, s4
	s_addc_u32 s5, s8, s5
	v_lshlrev_b64 v[2:3], 4, v[4:5]
	v_mov_b32_e32 v8, s5
	v_add_co_u32_e32 v2, vcc, s4, v2
	v_addc_co_u32_e32 v3, vcc, v8, v3, vcc
	global_load_dwordx4 v[10:13], v[2:3], off
	s_waitcnt vmcnt(0)
	v_mul_f64 v[8:9], s[2:3], v[12:13]
	v_mul_f64 v[2:3], s[0:1], v[12:13]
	v_fma_f64 v[8:9], s[0:1], v[10:11], -v[8:9]
	v_fmac_f64_e32 v[2:3], s[2:3], v[10:11]
.LBB33_9:
	v_add_f64 v[0:1], v[0:1], v[8:9]
	v_add_f64 v[2:3], v[6:7], v[2:3]
.LBB33_10:
	s_waitcnt lgkmcnt(0)
	s_mul_i32 s0, s7, s31
	s_mul_hi_u32 s1, s7, s30
	s_add_i32 s1, s1, s0
	s_mul_i32 s0, s7, s30
	s_lshl_b64 s[0:1], s[0:1], 4
	s_add_u32 s2, s26, s0
	s_addc_u32 s3, s27, s1
	s_lshl_b64 s[0:1], s[28:29], 4
	s_add_u32 s0, s2, s0
	s_addc_u32 s1, s3, s1
	v_lshlrev_b64 v[4:5], 4, v[4:5]
	v_mov_b32_e32 v6, s1
	v_add_co_u32_e32 v4, vcc, s0, v4
	v_addc_co_u32_e32 v5, vcc, v6, v5, vcc
	global_store_dwordx4 v[4:5], v[0:3], off
.LBB33_11:
	s_endpgm
	.section	.rodata,"a",@progbits
	.p2align	6, 0x0
	.amdhsa_kernel _ZL22rocblas_geam_1D_deviceILi256EPK19rocblas_complex_numIdES3_PS1_EvmT0_T1_llS5_S6_llT2_lli
		.amdhsa_group_segment_fixed_size 0
		.amdhsa_private_segment_fixed_size 0
		.amdhsa_kernarg_size 360
		.amdhsa_user_sgpr_count 6
		.amdhsa_user_sgpr_private_segment_buffer 1
		.amdhsa_user_sgpr_dispatch_ptr 0
		.amdhsa_user_sgpr_queue_ptr 0
		.amdhsa_user_sgpr_kernarg_segment_ptr 1
		.amdhsa_user_sgpr_dispatch_id 0
		.amdhsa_user_sgpr_flat_scratch_init 0
		.amdhsa_user_sgpr_kernarg_preload_length 0
		.amdhsa_user_sgpr_kernarg_preload_offset 0
		.amdhsa_user_sgpr_private_segment_size 0
		.amdhsa_uses_dynamic_stack 0
		.amdhsa_system_sgpr_private_segment_wavefront_offset 0
		.amdhsa_system_sgpr_workgroup_id_x 1
		.amdhsa_system_sgpr_workgroup_id_y 0
		.amdhsa_system_sgpr_workgroup_id_z 1
		.amdhsa_system_sgpr_workgroup_info 0
		.amdhsa_system_vgpr_workitem_id 0
		.amdhsa_next_free_vgpr 14
		.amdhsa_next_free_sgpr 40
		.amdhsa_accum_offset 16
		.amdhsa_reserve_vcc 1
		.amdhsa_reserve_flat_scratch 0
		.amdhsa_float_round_mode_32 0
		.amdhsa_float_round_mode_16_64 0
		.amdhsa_float_denorm_mode_32 3
		.amdhsa_float_denorm_mode_16_64 3
		.amdhsa_dx10_clamp 1
		.amdhsa_ieee_mode 1
		.amdhsa_fp16_overflow 0
		.amdhsa_tg_split 0
		.amdhsa_exception_fp_ieee_invalid_op 0
		.amdhsa_exception_fp_denorm_src 0
		.amdhsa_exception_fp_ieee_div_zero 0
		.amdhsa_exception_fp_ieee_overflow 0
		.amdhsa_exception_fp_ieee_underflow 0
		.amdhsa_exception_fp_ieee_inexact 0
		.amdhsa_exception_int_div_zero 0
	.end_amdhsa_kernel
	.section	.text._ZL22rocblas_geam_1D_deviceILi256EPK19rocblas_complex_numIdES3_PS1_EvmT0_T1_llS5_S6_llT2_lli,"axG",@progbits,_ZL22rocblas_geam_1D_deviceILi256EPK19rocblas_complex_numIdES3_PS1_EvmT0_T1_llS5_S6_llT2_lli,comdat
.Lfunc_end33:
	.size	_ZL22rocblas_geam_1D_deviceILi256EPK19rocblas_complex_numIdES3_PS1_EvmT0_T1_llS5_S6_llT2_lli, .Lfunc_end33-_ZL22rocblas_geam_1D_deviceILi256EPK19rocblas_complex_numIdES3_PS1_EvmT0_T1_llS5_S6_llT2_lli
                                        ; -- End function
	.section	.AMDGPU.csdata,"",@progbits
; Kernel info:
; codeLenInByte = 552
; NumSgprs: 44
; NumVgprs: 14
; NumAgprs: 0
; TotalNumVgprs: 14
; ScratchSize: 0
; MemoryBound: 0
; FloatMode: 240
; IeeeMode: 1
; LDSByteSize: 0 bytes/workgroup (compile time only)
; SGPRBlocks: 5
; VGPRBlocks: 1
; NumSGPRsForWavesPerEU: 44
; NumVGPRsForWavesPerEU: 14
; AccumOffset: 16
; Occupancy: 8
; WaveLimiterHint : 0
; COMPUTE_PGM_RSRC2:SCRATCH_EN: 0
; COMPUTE_PGM_RSRC2:USER_SGPR: 6
; COMPUTE_PGM_RSRC2:TRAP_HANDLER: 0
; COMPUTE_PGM_RSRC2:TGID_X_EN: 1
; COMPUTE_PGM_RSRC2:TGID_Y_EN: 0
; COMPUTE_PGM_RSRC2:TGID_Z_EN: 1
; COMPUTE_PGM_RSRC2:TIDIG_COMP_CNT: 0
; COMPUTE_PGM_RSRC3_GFX90A:ACCUM_OFFSET: 3
; COMPUTE_PGM_RSRC3_GFX90A:TG_SPLIT: 0
	.section	.text._ZL19rocblas_geam_deviceILi16ELi16E19rocblas_complex_numIdEPKS1_PS1_Ev18rocblas_operation_S5_iiT1_T2_lllS6_S7_lllT3_llli,"axG",@progbits,_ZL19rocblas_geam_deviceILi16ELi16E19rocblas_complex_numIdEPKS1_PS1_Ev18rocblas_operation_S5_iiT1_T2_lllS6_S7_lllT3_llli,comdat
	.globl	_ZL19rocblas_geam_deviceILi16ELi16E19rocblas_complex_numIdEPKS1_PS1_Ev18rocblas_operation_S5_iiT1_T2_lllS6_S7_lllT3_llli ; -- Begin function _ZL19rocblas_geam_deviceILi16ELi16E19rocblas_complex_numIdEPKS1_PS1_Ev18rocblas_operation_S5_iiT1_T2_lllS6_S7_lllT3_llli
	.p2align	8
	.type	_ZL19rocblas_geam_deviceILi16ELi16E19rocblas_complex_numIdEPKS1_PS1_Ev18rocblas_operation_S5_iiT1_T2_lllS6_S7_lllT3_llli,@function
_ZL19rocblas_geam_deviceILi16ELi16E19rocblas_complex_numIdEPKS1_PS1_Ev18rocblas_operation_S5_iiT1_T2_lllS6_S7_lllT3_llli: ; @_ZL19rocblas_geam_deviceILi16ELi16E19rocblas_complex_numIdEPKS1_PS1_Ev18rocblas_operation_S5_iiT1_T2_lllS6_S7_lllT3_llli
; %bb.0:
	s_load_dwordx4 s[24:27], s[4:5], 0x0
	v_and_b32_e32 v2, 0x3ff, v0
	v_bfe_u32 v0, v0, 10, 10
	s_waitcnt lgkmcnt(0)
	s_add_i32 s0, s26, -1
	s_ashr_i32 s1, s0, 31
	s_lshr_b32 s1, s1, 28
	s_add_i32 s0, s0, s1
	s_ashr_i32 s0, s0, 4
	s_add_i32 s1, s0, 1
	v_cvt_f32_u32_e32 v1, s1
	s_not_b32 s0, s0
	v_rcp_iflag_f32_e32 v1, v1
	v_mul_f32_e32 v1, 0x4f7ffffe, v1
	v_cvt_u32_f32_e32 v1, v1
	v_readfirstlane_b32 s2, v1
	s_mul_i32 s0, s0, s2
	s_mul_hi_u32 s0, s2, s0
	s_add_i32 s2, s2, s0
	s_mul_hi_u32 s0, s6, s2
	s_mul_i32 s2, s0, s1
	s_sub_i32 s2, s6, s2
	s_add_i32 s3, s0, 1
	s_sub_i32 s8, s2, s1
	s_cmp_ge_u32 s2, s1
	s_cselect_b32 s0, s3, s0
	s_cselect_b32 s2, s8, s2
	s_add_i32 s3, s0, 1
	s_cmp_ge_u32 s2, s1
	s_cselect_b32 s0, s3, s0
	s_mul_i32 s1, s0, s1
	v_lshl_add_u32 v10, s0, 4, v0
	s_sub_i32 s0, s6, s1
	v_lshl_add_u32 v8, s0, 4, v2
	v_cmp_gt_i32_e32 vcc, s26, v8
	v_cmp_gt_i32_e64 s[0:1], s27, v10
	s_and_b64 s[0:1], vcc, s[0:1]
	s_and_saveexec_b64 s[2:3], s[0:1]
	s_cbranch_execz .LBB34_6
; %bb.1:
	s_load_dwordx16 s[8:23], s[4:5], 0x10
	v_pk_mov_b32 v[0:1], 0, 0
	v_ashrrev_i32_e32 v9, 31, v8
	v_ashrrev_i32_e32 v11, 31, v10
	v_pk_mov_b32 v[4:5], v[0:1], v[0:1] op_sel:[0,1]
	s_waitcnt lgkmcnt(0)
	v_cmp_neq_f64_e64 s[0:1], s[8:9], 0
	v_cmp_neq_f64_e64 s[2:3], s[10:11], 0
	s_or_b64 s[0:1], s[0:1], s[2:3]
	s_andn2_b64 vcc, exec, s[0:1]
	v_pk_mov_b32 v[6:7], v[0:1], v[0:1] op_sel:[0,1]
	s_cbranch_vccnz .LBB34_3
; %bb.2:
	s_cmpk_eq_i32 s24, 0x6f
	s_cselect_b64 vcc, -1, 0
	v_cndmask_b32_e32 v2, v8, v10, vcc
	v_cndmask_b32_e32 v3, v9, v11, vcc
	v_mul_lo_u32 v4, v3, s16
	v_mul_lo_u32 v5, v2, s17
	v_mad_u64_u32 v[2:3], s[0:1], v2, s16, 0
	s_mul_i32 s0, s7, s19
	s_mul_hi_u32 s1, s7, s18
	s_add_i32 s1, s1, s0
	s_mul_i32 s0, s7, s18
	s_lshl_b64 s[0:1], s[0:1], 4
	s_add_u32 s2, s12, s0
	s_addc_u32 s3, s13, s1
	s_lshl_b64 s[0:1], s[14:15], 4
	v_add3_u32 v3, v3, v5, v4
	s_add_u32 s0, s2, s0
	s_addc_u32 s1, s3, s1
	v_lshlrev_b64 v[2:3], 4, v[2:3]
	v_cndmask_b32_e32 v5, v11, v9, vcc
	v_cndmask_b32_e32 v4, v10, v8, vcc
	v_mov_b32_e32 v6, s1
	v_add_co_u32_e32 v7, vcc, s0, v2
	v_addc_co_u32_e32 v6, vcc, v6, v3, vcc
	v_lshlrev_b64 v[2:3], 4, v[4:5]
	v_add_co_u32_e32 v2, vcc, v7, v2
	v_addc_co_u32_e32 v3, vcc, v6, v3, vcc
	global_load_dwordx4 v[4:7], v[2:3], off
.LBB34_3:
	s_load_dwordx16 s[36:51], s[4:5], 0x50
	v_cmp_neq_f64_e64 s[0:1], s[20:21], 0
	v_cmp_neq_f64_e64 s[2:3], s[22:23], 0
	s_or_b64 s[0:1], s[0:1], s[2:3]
	s_andn2_b64 vcc, exec, s[0:1]
	v_pk_mov_b32 v[2:3], v[0:1], v[0:1] op_sel:[0,1]
	s_cbranch_vccnz .LBB34_5
; %bb.4:
	s_waitcnt lgkmcnt(0)
	s_mul_i32 s0, s7, s43
	s_mul_hi_u32 s1, s7, s42
	s_add_i32 s1, s1, s0
	s_mul_i32 s0, s7, s42
	s_lshl_b64 s[0:1], s[0:1], 4
	s_add_u32 s2, s36, s0
	s_addc_u32 s3, s37, s1
	s_lshl_b64 s[0:1], s[38:39], 4
	s_add_u32 s2, s2, s0
	s_addc_u32 s3, s3, s1
	s_cmpk_eq_i32 s25, 0x6f
	s_cselect_b64 vcc, -1, 0
	v_cndmask_b32_e32 v2, v8, v10, vcc
	v_cndmask_b32_e32 v3, v9, v11, vcc
	v_mul_lo_u32 v12, v3, s40
	v_mul_lo_u32 v13, v2, s41
	v_mad_u64_u32 v[2:3], s[0:1], v2, s40, 0
	v_add3_u32 v3, v3, v13, v12
	v_lshlrev_b64 v[2:3], 4, v[2:3]
	v_cndmask_b32_e32 v1, v11, v9, vcc
	v_cndmask_b32_e32 v0, v10, v8, vcc
	v_mov_b32_e32 v12, s3
	v_add_co_u32_e32 v2, vcc, s2, v2
	v_addc_co_u32_e32 v3, vcc, v12, v3, vcc
	v_lshlrev_b64 v[0:1], 4, v[0:1]
	v_add_co_u32_e32 v0, vcc, v2, v0
	v_addc_co_u32_e32 v1, vcc, v3, v1, vcc
	global_load_dwordx4 v[0:3], v[0:1], off
.LBB34_5:
	s_waitcnt lgkmcnt(0)
	s_mul_i32 s0, s7, s51
	s_mul_hi_u32 s1, s7, s50
	s_add_i32 s1, s1, s0
	s_mul_i32 s0, s7, s50
	s_lshl_b64 s[0:1], s[0:1], 4
	s_add_u32 s2, s44, s0
	s_addc_u32 s3, s45, s1
	s_lshl_b64 s[0:1], s[46:47], 4
	s_add_u32 s2, s2, s0
	s_addc_u32 s3, s3, s1
	v_mul_lo_u32 v12, v11, s48
	v_mul_lo_u32 v13, v10, s49
	v_mad_u64_u32 v[10:11], s[0:1], v10, s48, 0
	s_cmpk_eq_i32 s24, 0x71
	v_add3_u32 v11, v11, v13, v12
	s_waitcnt vmcnt(0)
	v_xor_b32_e32 v12, 0x80000000, v7
	s_cselect_b64 vcc, -1, 0
	s_cmpk_eq_i32 s25, 0x71
	v_cndmask_b32_e32 v7, v7, v12, vcc
	v_cndmask_b32_e32 v6, v6, v6, vcc
	v_xor_b32_e32 v12, 0x80000000, v3
	s_cselect_b64 vcc, -1, 0
	v_cndmask_b32_e32 v3, v3, v12, vcc
	v_cndmask_b32_e32 v2, v2, v2, vcc
	v_mul_f64 v[12:13], s[22:23], v[2:3]
	v_mul_f64 v[2:3], s[20:21], v[2:3]
	v_fma_f64 v[12:13], s[20:21], v[0:1], -v[12:13]
	v_fmac_f64_e32 v[2:3], s[22:23], v[0:1]
	v_mul_f64 v[0:1], s[10:11], v[6:7]
	v_mul_f64 v[6:7], s[8:9], v[6:7]
	v_fma_f64 v[0:1], s[8:9], v[4:5], -v[0:1]
	v_fmac_f64_e32 v[6:7], s[10:11], v[4:5]
	v_lshlrev_b64 v[4:5], 4, v[10:11]
	v_add_f64 v[2:3], v[6:7], v[2:3]
	v_mov_b32_e32 v6, s3
	v_add_co_u32_e32 v7, vcc, s2, v4
	v_addc_co_u32_e32 v6, vcc, v6, v5, vcc
	v_lshlrev_b64 v[4:5], 4, v[8:9]
	v_add_co_u32_e32 v4, vcc, v7, v4
	v_add_f64 v[0:1], v[0:1], v[12:13]
	v_addc_co_u32_e32 v5, vcc, v6, v5, vcc
	global_store_dwordx4 v[4:5], v[0:3], off
.LBB34_6:
	s_endpgm
	.section	.rodata,"a",@progbits
	.p2align	6, 0x0
	.amdhsa_kernel _ZL19rocblas_geam_deviceILi16ELi16E19rocblas_complex_numIdEPKS1_PS1_Ev18rocblas_operation_S5_iiT1_T2_lllS6_S7_lllT3_llli
		.amdhsa_group_segment_fixed_size 0
		.amdhsa_private_segment_fixed_size 0
		.amdhsa_kernarg_size 148
		.amdhsa_user_sgpr_count 6
		.amdhsa_user_sgpr_private_segment_buffer 1
		.amdhsa_user_sgpr_dispatch_ptr 0
		.amdhsa_user_sgpr_queue_ptr 0
		.amdhsa_user_sgpr_kernarg_segment_ptr 1
		.amdhsa_user_sgpr_dispatch_id 0
		.amdhsa_user_sgpr_flat_scratch_init 0
		.amdhsa_user_sgpr_kernarg_preload_length 0
		.amdhsa_user_sgpr_kernarg_preload_offset 0
		.amdhsa_user_sgpr_private_segment_size 0
		.amdhsa_uses_dynamic_stack 0
		.amdhsa_system_sgpr_private_segment_wavefront_offset 0
		.amdhsa_system_sgpr_workgroup_id_x 1
		.amdhsa_system_sgpr_workgroup_id_y 0
		.amdhsa_system_sgpr_workgroup_id_z 1
		.amdhsa_system_sgpr_workgroup_info 0
		.amdhsa_system_vgpr_workitem_id 1
		.amdhsa_next_free_vgpr 14
		.amdhsa_next_free_sgpr 52
		.amdhsa_accum_offset 16
		.amdhsa_reserve_vcc 1
		.amdhsa_reserve_flat_scratch 0
		.amdhsa_float_round_mode_32 0
		.amdhsa_float_round_mode_16_64 0
		.amdhsa_float_denorm_mode_32 3
		.amdhsa_float_denorm_mode_16_64 3
		.amdhsa_dx10_clamp 1
		.amdhsa_ieee_mode 1
		.amdhsa_fp16_overflow 0
		.amdhsa_tg_split 0
		.amdhsa_exception_fp_ieee_invalid_op 0
		.amdhsa_exception_fp_denorm_src 0
		.amdhsa_exception_fp_ieee_div_zero 0
		.amdhsa_exception_fp_ieee_overflow 0
		.amdhsa_exception_fp_ieee_underflow 0
		.amdhsa_exception_fp_ieee_inexact 0
		.amdhsa_exception_int_div_zero 0
	.end_amdhsa_kernel
	.section	.text._ZL19rocblas_geam_deviceILi16ELi16E19rocblas_complex_numIdEPKS1_PS1_Ev18rocblas_operation_S5_iiT1_T2_lllS6_S7_lllT3_llli,"axG",@progbits,_ZL19rocblas_geam_deviceILi16ELi16E19rocblas_complex_numIdEPKS1_PS1_Ev18rocblas_operation_S5_iiT1_T2_lllS6_S7_lllT3_llli,comdat
.Lfunc_end34:
	.size	_ZL19rocblas_geam_deviceILi16ELi16E19rocblas_complex_numIdEPKS1_PS1_Ev18rocblas_operation_S5_iiT1_T2_lllS6_S7_lllT3_llli, .Lfunc_end34-_ZL19rocblas_geam_deviceILi16ELi16E19rocblas_complex_numIdEPKS1_PS1_Ev18rocblas_operation_S5_iiT1_T2_lllS6_S7_lllT3_llli
                                        ; -- End function
	.section	.AMDGPU.csdata,"",@progbits
; Kernel info:
; codeLenInByte = 832
; NumSgprs: 56
; NumVgprs: 14
; NumAgprs: 0
; TotalNumVgprs: 14
; ScratchSize: 0
; MemoryBound: 0
; FloatMode: 240
; IeeeMode: 1
; LDSByteSize: 0 bytes/workgroup (compile time only)
; SGPRBlocks: 6
; VGPRBlocks: 1
; NumSGPRsForWavesPerEU: 56
; NumVGPRsForWavesPerEU: 14
; AccumOffset: 16
; Occupancy: 8
; WaveLimiterHint : 0
; COMPUTE_PGM_RSRC2:SCRATCH_EN: 0
; COMPUTE_PGM_RSRC2:USER_SGPR: 6
; COMPUTE_PGM_RSRC2:TRAP_HANDLER: 0
; COMPUTE_PGM_RSRC2:TGID_X_EN: 1
; COMPUTE_PGM_RSRC2:TGID_Y_EN: 0
; COMPUTE_PGM_RSRC2:TGID_Z_EN: 1
; COMPUTE_PGM_RSRC2:TIDIG_COMP_CNT: 1
; COMPUTE_PGM_RSRC3_GFX90A:ACCUM_OFFSET: 3
; COMPUTE_PGM_RSRC3_GFX90A:TG_SPLIT: 0
	.section	.text._ZL19rocblas_geam_deviceILi16ELi16EPK19rocblas_complex_numIdES3_PS1_Ev18rocblas_operation_S5_iiT1_T2_lllS6_S7_lllT3_llli,"axG",@progbits,_ZL19rocblas_geam_deviceILi16ELi16EPK19rocblas_complex_numIdES3_PS1_Ev18rocblas_operation_S5_iiT1_T2_lllS6_S7_lllT3_llli,comdat
	.globl	_ZL19rocblas_geam_deviceILi16ELi16EPK19rocblas_complex_numIdES3_PS1_Ev18rocblas_operation_S5_iiT1_T2_lllS6_S7_lllT3_llli ; -- Begin function _ZL19rocblas_geam_deviceILi16ELi16EPK19rocblas_complex_numIdES3_PS1_Ev18rocblas_operation_S5_iiT1_T2_lllS6_S7_lllT3_llli
	.p2align	8
	.type	_ZL19rocblas_geam_deviceILi16ELi16EPK19rocblas_complex_numIdES3_PS1_Ev18rocblas_operation_S5_iiT1_T2_lllS6_S7_lllT3_llli,@function
_ZL19rocblas_geam_deviceILi16ELi16EPK19rocblas_complex_numIdES3_PS1_Ev18rocblas_operation_S5_iiT1_T2_lllS6_S7_lllT3_llli: ; @_ZL19rocblas_geam_deviceILi16ELi16EPK19rocblas_complex_numIdES3_PS1_Ev18rocblas_operation_S5_iiT1_T2_lllS6_S7_lllT3_llli
; %bb.0:
	s_load_dwordx4 s[24:27], s[4:5], 0x0
	v_and_b32_e32 v2, 0x3ff, v0
	v_bfe_u32 v0, v0, 10, 10
	s_waitcnt lgkmcnt(0)
	s_add_i32 s0, s26, -1
	s_ashr_i32 s1, s0, 31
	s_lshr_b32 s1, s1, 28
	s_add_i32 s0, s0, s1
	s_ashr_i32 s0, s0, 4
	s_add_i32 s1, s0, 1
	v_cvt_f32_u32_e32 v1, s1
	s_not_b32 s0, s0
	v_rcp_iflag_f32_e32 v1, v1
	v_mul_f32_e32 v1, 0x4f7ffffe, v1
	v_cvt_u32_f32_e32 v1, v1
	v_readfirstlane_b32 s2, v1
	s_mul_i32 s0, s0, s2
	s_mul_hi_u32 s0, s2, s0
	s_add_i32 s2, s2, s0
	s_mul_hi_u32 s0, s6, s2
	s_mul_i32 s2, s0, s1
	s_sub_i32 s2, s6, s2
	s_add_i32 s3, s0, 1
	s_sub_i32 s8, s2, s1
	s_cmp_ge_u32 s2, s1
	s_cselect_b32 s0, s3, s0
	s_cselect_b32 s2, s8, s2
	s_add_i32 s3, s0, 1
	s_cmp_ge_u32 s2, s1
	s_cselect_b32 s0, s3, s0
	s_mul_i32 s1, s0, s1
	v_lshl_add_u32 v10, s0, 4, v0
	s_sub_i32 s0, s6, s1
	v_lshl_add_u32 v8, s0, 4, v2
	v_cmp_gt_i32_e32 vcc, s26, v8
	v_cmp_gt_i32_e64 s[0:1], s27, v10
	s_and_b64 s[0:1], vcc, s[0:1]
	s_and_saveexec_b64 s[2:3], s[0:1]
	s_cbranch_execz .LBB35_6
; %bb.1:
	s_load_dwordx16 s[8:23], s[4:5], 0x10
	v_pk_mov_b32 v[0:1], 0, 0
	v_ashrrev_i32_e32 v9, 31, v8
	v_ashrrev_i32_e32 v11, 31, v10
	v_pk_mov_b32 v[4:5], v[0:1], v[0:1] op_sel:[0,1]
	s_waitcnt lgkmcnt(0)
	s_load_dwordx4 s[0:3], s[8:9], 0x0
	s_load_dwordx4 s[28:31], s[18:19], 0x0
	v_pk_mov_b32 v[6:7], v[0:1], v[0:1] op_sel:[0,1]
	s_waitcnt lgkmcnt(0)
	v_cmp_neq_f64_e64 s[8:9], s[0:1], 0
	v_cmp_neq_f64_e64 s[18:19], s[2:3], 0
	s_or_b64 s[8:9], s[8:9], s[18:19]
	s_andn2_b64 vcc, exec, s[8:9]
	s_cbranch_vccnz .LBB35_3
; %bb.2:
	s_cmpk_eq_i32 s24, 0x6f
	s_cselect_b64 vcc, -1, 0
	v_cndmask_b32_e32 v2, v8, v10, vcc
	v_cndmask_b32_e32 v3, v9, v11, vcc
	v_mul_lo_u32 v4, v3, s14
	v_mul_lo_u32 v5, v2, s15
	v_mad_u64_u32 v[2:3], s[8:9], v2, s14, 0
	s_mul_i32 s6, s7, s17
	s_mul_hi_u32 s8, s7, s16
	s_add_i32 s9, s8, s6
	s_mul_i32 s8, s7, s16
	s_lshl_b64 s[8:9], s[8:9], 4
	s_add_u32 s6, s10, s8
	s_addc_u32 s10, s11, s9
	s_lshl_b64 s[8:9], s[12:13], 4
	v_add3_u32 v3, v3, v5, v4
	s_add_u32 s6, s6, s8
	s_addc_u32 s8, s10, s9
	v_lshlrev_b64 v[2:3], 4, v[2:3]
	v_cndmask_b32_e32 v5, v11, v9, vcc
	v_cndmask_b32_e32 v4, v10, v8, vcc
	v_mov_b32_e32 v6, s8
	v_add_co_u32_e32 v7, vcc, s6, v2
	v_addc_co_u32_e32 v6, vcc, v6, v3, vcc
	v_lshlrev_b64 v[2:3], 4, v[4:5]
	v_add_co_u32_e32 v2, vcc, v7, v2
	v_addc_co_u32_e32 v3, vcc, v6, v3, vcc
	global_load_dwordx4 v[4:7], v[2:3], off
.LBB35_3:
	s_load_dwordx8 s[8:15], s[4:5], 0x50
	s_load_dwordx4 s[16:19], s[4:5], 0x70
	v_cmp_neq_f64_e64 s[4:5], s[28:29], 0
	v_cmp_neq_f64_e64 s[26:27], s[30:31], 0
	s_or_b64 s[4:5], s[4:5], s[26:27]
	s_andn2_b64 vcc, exec, s[4:5]
	v_pk_mov_b32 v[2:3], v[0:1], v[0:1] op_sel:[0,1]
	s_cbranch_vccnz .LBB35_5
; %bb.4:
	s_waitcnt lgkmcnt(0)
	s_mul_i32 s4, s7, s11
	s_mul_hi_u32 s5, s7, s10
	s_add_i32 s5, s5, s4
	s_mul_i32 s4, s7, s10
	s_lshl_b64 s[4:5], s[4:5], 4
	s_add_u32 s6, s20, s4
	s_addc_u32 s10, s21, s5
	s_lshl_b64 s[4:5], s[22:23], 4
	s_add_u32 s6, s6, s4
	s_addc_u32 s10, s10, s5
	s_cmpk_eq_i32 s25, 0x6f
	s_cselect_b64 vcc, -1, 0
	v_cndmask_b32_e32 v2, v8, v10, vcc
	v_cndmask_b32_e32 v3, v9, v11, vcc
	v_mul_lo_u32 v12, v3, s8
	v_mul_lo_u32 v13, v2, s9
	v_mad_u64_u32 v[2:3], s[4:5], v2, s8, 0
	v_add3_u32 v3, v3, v13, v12
	v_lshlrev_b64 v[2:3], 4, v[2:3]
	v_cndmask_b32_e32 v1, v11, v9, vcc
	v_cndmask_b32_e32 v0, v10, v8, vcc
	v_mov_b32_e32 v12, s10
	v_add_co_u32_e32 v2, vcc, s6, v2
	v_addc_co_u32_e32 v3, vcc, v12, v3, vcc
	v_lshlrev_b64 v[0:1], 4, v[0:1]
	v_add_co_u32_e32 v0, vcc, v2, v0
	v_addc_co_u32_e32 v1, vcc, v3, v1, vcc
	global_load_dwordx4 v[0:3], v[0:1], off
.LBB35_5:
	s_waitcnt lgkmcnt(0)
	s_mul_i32 s4, s7, s19
	s_mul_hi_u32 s5, s7, s18
	s_add_i32 s5, s5, s4
	s_mul_i32 s4, s7, s18
	s_lshl_b64 s[4:5], s[4:5], 4
	s_add_u32 s6, s12, s4
	s_addc_u32 s7, s13, s5
	s_lshl_b64 s[4:5], s[14:15], 4
	s_add_u32 s6, s6, s4
	s_addc_u32 s7, s7, s5
	v_mul_lo_u32 v12, v11, s16
	v_mul_lo_u32 v13, v10, s17
	v_mad_u64_u32 v[10:11], s[4:5], v10, s16, 0
	s_cmpk_eq_i32 s24, 0x71
	v_add3_u32 v11, v11, v13, v12
	s_waitcnt vmcnt(0)
	v_xor_b32_e32 v12, 0x80000000, v7
	s_cselect_b64 vcc, -1, 0
	s_cmpk_eq_i32 s25, 0x71
	v_cndmask_b32_e32 v7, v7, v12, vcc
	v_cndmask_b32_e32 v6, v6, v6, vcc
	v_xor_b32_e32 v12, 0x80000000, v3
	s_cselect_b64 vcc, -1, 0
	v_cndmask_b32_e32 v3, v3, v12, vcc
	v_cndmask_b32_e32 v2, v2, v2, vcc
	v_mul_f64 v[12:13], s[30:31], v[2:3]
	v_mul_f64 v[2:3], s[28:29], v[2:3]
	v_fma_f64 v[12:13], s[28:29], v[0:1], -v[12:13]
	v_fmac_f64_e32 v[2:3], s[30:31], v[0:1]
	v_mul_f64 v[0:1], s[2:3], v[6:7]
	v_mul_f64 v[6:7], s[0:1], v[6:7]
	v_fma_f64 v[0:1], s[0:1], v[4:5], -v[0:1]
	v_fmac_f64_e32 v[6:7], s[2:3], v[4:5]
	v_lshlrev_b64 v[4:5], 4, v[10:11]
	v_add_f64 v[2:3], v[6:7], v[2:3]
	v_mov_b32_e32 v6, s7
	v_add_co_u32_e32 v7, vcc, s6, v4
	v_addc_co_u32_e32 v6, vcc, v6, v5, vcc
	v_lshlrev_b64 v[4:5], 4, v[8:9]
	v_add_co_u32_e32 v4, vcc, v7, v4
	v_add_f64 v[0:1], v[0:1], v[12:13]
	v_addc_co_u32_e32 v5, vcc, v6, v5, vcc
	global_store_dwordx4 v[4:5], v[0:3], off
.LBB35_6:
	s_endpgm
	.section	.rodata,"a",@progbits
	.p2align	6, 0x0
	.amdhsa_kernel _ZL19rocblas_geam_deviceILi16ELi16EPK19rocblas_complex_numIdES3_PS1_Ev18rocblas_operation_S5_iiT1_T2_lllS6_S7_lllT3_llli
		.amdhsa_group_segment_fixed_size 0
		.amdhsa_private_segment_fixed_size 0
		.amdhsa_kernarg_size 132
		.amdhsa_user_sgpr_count 6
		.amdhsa_user_sgpr_private_segment_buffer 1
		.amdhsa_user_sgpr_dispatch_ptr 0
		.amdhsa_user_sgpr_queue_ptr 0
		.amdhsa_user_sgpr_kernarg_segment_ptr 1
		.amdhsa_user_sgpr_dispatch_id 0
		.amdhsa_user_sgpr_flat_scratch_init 0
		.amdhsa_user_sgpr_kernarg_preload_length 0
		.amdhsa_user_sgpr_kernarg_preload_offset 0
		.amdhsa_user_sgpr_private_segment_size 0
		.amdhsa_uses_dynamic_stack 0
		.amdhsa_system_sgpr_private_segment_wavefront_offset 0
		.amdhsa_system_sgpr_workgroup_id_x 1
		.amdhsa_system_sgpr_workgroup_id_y 0
		.amdhsa_system_sgpr_workgroup_id_z 1
		.amdhsa_system_sgpr_workgroup_info 0
		.amdhsa_system_vgpr_workitem_id 1
		.amdhsa_next_free_vgpr 14
		.amdhsa_next_free_sgpr 32
		.amdhsa_accum_offset 16
		.amdhsa_reserve_vcc 1
		.amdhsa_reserve_flat_scratch 0
		.amdhsa_float_round_mode_32 0
		.amdhsa_float_round_mode_16_64 0
		.amdhsa_float_denorm_mode_32 3
		.amdhsa_float_denorm_mode_16_64 3
		.amdhsa_dx10_clamp 1
		.amdhsa_ieee_mode 1
		.amdhsa_fp16_overflow 0
		.amdhsa_tg_split 0
		.amdhsa_exception_fp_ieee_invalid_op 0
		.amdhsa_exception_fp_denorm_src 0
		.amdhsa_exception_fp_ieee_div_zero 0
		.amdhsa_exception_fp_ieee_overflow 0
		.amdhsa_exception_fp_ieee_underflow 0
		.amdhsa_exception_fp_ieee_inexact 0
		.amdhsa_exception_int_div_zero 0
	.end_amdhsa_kernel
	.section	.text._ZL19rocblas_geam_deviceILi16ELi16EPK19rocblas_complex_numIdES3_PS1_Ev18rocblas_operation_S5_iiT1_T2_lllS6_S7_lllT3_llli,"axG",@progbits,_ZL19rocblas_geam_deviceILi16ELi16EPK19rocblas_complex_numIdES3_PS1_Ev18rocblas_operation_S5_iiT1_T2_lllS6_S7_lllT3_llli,comdat
.Lfunc_end35:
	.size	_ZL19rocblas_geam_deviceILi16ELi16EPK19rocblas_complex_numIdES3_PS1_Ev18rocblas_operation_S5_iiT1_T2_lllS6_S7_lllT3_llli, .Lfunc_end35-_ZL19rocblas_geam_deviceILi16ELi16EPK19rocblas_complex_numIdES3_PS1_Ev18rocblas_operation_S5_iiT1_T2_lllS6_S7_lllT3_llli
                                        ; -- End function
	.section	.AMDGPU.csdata,"",@progbits
; Kernel info:
; codeLenInByte = 860
; NumSgprs: 36
; NumVgprs: 14
; NumAgprs: 0
; TotalNumVgprs: 14
; ScratchSize: 0
; MemoryBound: 0
; FloatMode: 240
; IeeeMode: 1
; LDSByteSize: 0 bytes/workgroup (compile time only)
; SGPRBlocks: 4
; VGPRBlocks: 1
; NumSGPRsForWavesPerEU: 36
; NumVGPRsForWavesPerEU: 14
; AccumOffset: 16
; Occupancy: 8
; WaveLimiterHint : 0
; COMPUTE_PGM_RSRC2:SCRATCH_EN: 0
; COMPUTE_PGM_RSRC2:USER_SGPR: 6
; COMPUTE_PGM_RSRC2:TRAP_HANDLER: 0
; COMPUTE_PGM_RSRC2:TGID_X_EN: 1
; COMPUTE_PGM_RSRC2:TGID_Y_EN: 0
; COMPUTE_PGM_RSRC2:TGID_Z_EN: 1
; COMPUTE_PGM_RSRC2:TIDIG_COMP_CNT: 1
; COMPUTE_PGM_RSRC3_GFX90A:ACCUM_OFFSET: 3
; COMPUTE_PGM_RSRC3_GFX90A:TG_SPLIT: 0
	.section	.text._ZL31rocblas_geam_zero_matrix_deviceILi16ELi16EPKPfEviiT1_llli,"axG",@progbits,_ZL31rocblas_geam_zero_matrix_deviceILi16ELi16EPKPfEviiT1_llli,comdat
	.globl	_ZL31rocblas_geam_zero_matrix_deviceILi16ELi16EPKPfEviiT1_llli ; -- Begin function _ZL31rocblas_geam_zero_matrix_deviceILi16ELi16EPKPfEviiT1_llli
	.p2align	8
	.type	_ZL31rocblas_geam_zero_matrix_deviceILi16ELi16EPKPfEviiT1_llli,@function
_ZL31rocblas_geam_zero_matrix_deviceILi16ELi16EPKPfEviiT1_llli: ; @_ZL31rocblas_geam_zero_matrix_deviceILi16ELi16EPKPfEviiT1_llli
; %bb.0:
	s_load_dwordx2 s[0:1], s[4:5], 0x0
	s_mov_b32 s2, s7
	v_and_b32_e32 v3, 0x3ff, v0
	v_bfe_u32 v0, v0, 10, 10
	s_waitcnt lgkmcnt(0)
	s_add_i32 s3, s0, -1
	s_ashr_i32 s7, s3, 31
	s_lshr_b32 s7, s7, 28
	s_add_i32 s3, s3, s7
	s_ashr_i32 s3, s3, 4
	s_add_i32 s7, s3, 1
	v_cvt_f32_u32_e32 v1, s7
	s_not_b32 s3, s3
	v_rcp_iflag_f32_e32 v1, v1
	v_mul_f32_e32 v1, 0x4f7ffffe, v1
	v_cvt_u32_f32_e32 v1, v1
	v_readfirstlane_b32 s8, v1
	s_mul_i32 s3, s3, s8
	s_mul_hi_u32 s3, s8, s3
	s_add_i32 s8, s8, s3
	s_mul_hi_u32 s3, s6, s8
	s_mul_i32 s8, s3, s7
	s_sub_i32 s8, s6, s8
	s_add_i32 s9, s3, 1
	s_sub_i32 s10, s8, s7
	s_cmp_ge_u32 s8, s7
	s_cselect_b32 s3, s9, s3
	s_cselect_b32 s8, s10, s8
	s_add_i32 s9, s3, 1
	s_cmp_ge_u32 s8, s7
	s_cselect_b32 s3, s9, s3
	s_mul_i32 s7, s3, s7
	v_lshl_add_u32 v2, s3, 4, v0
	s_sub_i32 s3, s6, s7
	v_lshl_add_u32 v0, s3, 4, v3
	v_cmp_gt_i32_e32 vcc, s0, v0
	v_cmp_gt_i32_e64 s[0:1], s1, v2
	s_and_b64 s[0:1], vcc, s[0:1]
	s_and_saveexec_b64 s[6:7], s[0:1]
	s_cbranch_execz .LBB36_2
; %bb.1:
	s_load_dwordx4 s[8:11], s[4:5], 0x8
	s_load_dwordx2 s[0:1], s[4:5], 0x18
	s_mov_b32 s3, 0
	s_lshl_b64 s[2:3], s[2:3], 3
	v_ashrrev_i32_e32 v3, 31, v2
	s_waitcnt lgkmcnt(0)
	s_add_u32 s2, s8, s2
	s_addc_u32 s3, s9, s3
	s_load_dwordx2 s[2:3], s[2:3], 0x0
	v_mul_lo_u32 v4, v2, s1
	v_mul_lo_u32 v5, v3, s0
	s_lshl_b64 s[4:5], s[10:11], 2
	v_mad_u64_u32 v[2:3], s[0:1], v2, s0, 0
	s_waitcnt lgkmcnt(0)
	s_add_u32 s2, s2, s4
	v_add3_u32 v3, v3, v4, v5
	s_addc_u32 s3, s3, s5
	v_lshlrev_b64 v[2:3], 2, v[2:3]
	v_ashrrev_i32_e32 v1, 31, v0
	v_mov_b32_e32 v4, s3
	v_add_co_u32_e32 v2, vcc, s2, v2
	v_addc_co_u32_e32 v3, vcc, v4, v3, vcc
	v_lshlrev_b64 v[0:1], 2, v[0:1]
	v_add_co_u32_e32 v0, vcc, v2, v0
	v_addc_co_u32_e32 v1, vcc, v3, v1, vcc
	v_mov_b32_e32 v2, 0
	global_store_dword v[0:1], v2, off
.LBB36_2:
	s_endpgm
	.section	.rodata,"a",@progbits
	.p2align	6, 0x0
	.amdhsa_kernel _ZL31rocblas_geam_zero_matrix_deviceILi16ELi16EPKPfEviiT1_llli
		.amdhsa_group_segment_fixed_size 0
		.amdhsa_private_segment_fixed_size 0
		.amdhsa_kernarg_size 44
		.amdhsa_user_sgpr_count 6
		.amdhsa_user_sgpr_private_segment_buffer 1
		.amdhsa_user_sgpr_dispatch_ptr 0
		.amdhsa_user_sgpr_queue_ptr 0
		.amdhsa_user_sgpr_kernarg_segment_ptr 1
		.amdhsa_user_sgpr_dispatch_id 0
		.amdhsa_user_sgpr_flat_scratch_init 0
		.amdhsa_user_sgpr_kernarg_preload_length 0
		.amdhsa_user_sgpr_kernarg_preload_offset 0
		.amdhsa_user_sgpr_private_segment_size 0
		.amdhsa_uses_dynamic_stack 0
		.amdhsa_system_sgpr_private_segment_wavefront_offset 0
		.amdhsa_system_sgpr_workgroup_id_x 1
		.amdhsa_system_sgpr_workgroup_id_y 0
		.amdhsa_system_sgpr_workgroup_id_z 1
		.amdhsa_system_sgpr_workgroup_info 0
		.amdhsa_system_vgpr_workitem_id 1
		.amdhsa_next_free_vgpr 6
		.amdhsa_next_free_sgpr 12
		.amdhsa_accum_offset 8
		.amdhsa_reserve_vcc 1
		.amdhsa_reserve_flat_scratch 0
		.amdhsa_float_round_mode_32 0
		.amdhsa_float_round_mode_16_64 0
		.amdhsa_float_denorm_mode_32 3
		.amdhsa_float_denorm_mode_16_64 3
		.amdhsa_dx10_clamp 1
		.amdhsa_ieee_mode 1
		.amdhsa_fp16_overflow 0
		.amdhsa_tg_split 0
		.amdhsa_exception_fp_ieee_invalid_op 0
		.amdhsa_exception_fp_denorm_src 0
		.amdhsa_exception_fp_ieee_div_zero 0
		.amdhsa_exception_fp_ieee_overflow 0
		.amdhsa_exception_fp_ieee_underflow 0
		.amdhsa_exception_fp_ieee_inexact 0
		.amdhsa_exception_int_div_zero 0
	.end_amdhsa_kernel
	.section	.text._ZL31rocblas_geam_zero_matrix_deviceILi16ELi16EPKPfEviiT1_llli,"axG",@progbits,_ZL31rocblas_geam_zero_matrix_deviceILi16ELi16EPKPfEviiT1_llli,comdat
.Lfunc_end36:
	.size	_ZL31rocblas_geam_zero_matrix_deviceILi16ELi16EPKPfEviiT1_llli, .Lfunc_end36-_ZL31rocblas_geam_zero_matrix_deviceILi16ELi16EPKPfEviiT1_llli
                                        ; -- End function
	.section	.AMDGPU.csdata,"",@progbits
; Kernel info:
; codeLenInByte = 340
; NumSgprs: 16
; NumVgprs: 6
; NumAgprs: 0
; TotalNumVgprs: 6
; ScratchSize: 0
; MemoryBound: 0
; FloatMode: 240
; IeeeMode: 1
; LDSByteSize: 0 bytes/workgroup (compile time only)
; SGPRBlocks: 1
; VGPRBlocks: 0
; NumSGPRsForWavesPerEU: 16
; NumVGPRsForWavesPerEU: 6
; AccumOffset: 8
; Occupancy: 8
; WaveLimiterHint : 1
; COMPUTE_PGM_RSRC2:SCRATCH_EN: 0
; COMPUTE_PGM_RSRC2:USER_SGPR: 6
; COMPUTE_PGM_RSRC2:TRAP_HANDLER: 0
; COMPUTE_PGM_RSRC2:TGID_X_EN: 1
; COMPUTE_PGM_RSRC2:TGID_Y_EN: 0
; COMPUTE_PGM_RSRC2:TGID_Z_EN: 1
; COMPUTE_PGM_RSRC2:TIDIG_COMP_CNT: 1
; COMPUTE_PGM_RSRC3_GFX90A:ACCUM_OFFSET: 1
; COMPUTE_PGM_RSRC3_GFX90A:TG_SPLIT: 0
	.section	.text._ZL27rocblas_geam_inplace_deviceILi16ELi16EfPKPKfPKPfEv18rocblas_operation_iiT1_S8_T2_lllT3_llli,"axG",@progbits,_ZL27rocblas_geam_inplace_deviceILi16ELi16EfPKPKfPKPfEv18rocblas_operation_iiT1_S8_T2_lllT3_llli,comdat
	.globl	_ZL27rocblas_geam_inplace_deviceILi16ELi16EfPKPKfPKPfEv18rocblas_operation_iiT1_S8_T2_lllT3_llli ; -- Begin function _ZL27rocblas_geam_inplace_deviceILi16ELi16EfPKPKfPKPfEv18rocblas_operation_iiT1_S8_T2_lllT3_llli
	.p2align	8
	.type	_ZL27rocblas_geam_inplace_deviceILi16ELi16EfPKPKfPKPfEv18rocblas_operation_iiT1_S8_T2_lllT3_llli,@function
_ZL27rocblas_geam_inplace_deviceILi16ELi16EfPKPKfPKPfEv18rocblas_operation_iiT1_S8_T2_lllT3_llli: ; @_ZL27rocblas_geam_inplace_deviceILi16ELi16EfPKPKfPKPfEv18rocblas_operation_iiT1_S8_T2_lllT3_llli
; %bb.0:
	s_load_dwordx4 s[8:11], s[4:5], 0x0
	s_mov_b32 s2, s7
	v_and_b32_e32 v3, 0x3ff, v0
	v_bfe_u32 v0, v0, 10, 10
	s_waitcnt lgkmcnt(0)
	s_add_i32 s0, s9, -1
	s_ashr_i32 s1, s0, 31
	s_lshr_b32 s1, s1, 28
	s_add_i32 s0, s0, s1
	s_ashr_i32 s0, s0, 4
	s_add_i32 s1, s0, 1
	v_cvt_f32_u32_e32 v1, s1
	s_not_b32 s0, s0
	v_rcp_iflag_f32_e32 v1, v1
	v_mul_f32_e32 v1, 0x4f7ffffe, v1
	v_cvt_u32_f32_e32 v1, v1
	v_readfirstlane_b32 s3, v1
	s_mul_i32 s0, s0, s3
	s_mul_hi_u32 s0, s3, s0
	s_add_i32 s3, s3, s0
	s_mul_hi_u32 s0, s6, s3
	s_mul_i32 s3, s0, s1
	s_sub_i32 s3, s6, s3
	s_add_i32 s7, s0, 1
	s_sub_i32 s12, s3, s1
	s_cmp_ge_u32 s3, s1
	s_cselect_b32 s0, s7, s0
	s_cselect_b32 s3, s12, s3
	s_add_i32 s7, s0, 1
	s_cmp_ge_u32 s3, s1
	s_cselect_b32 s0, s7, s0
	s_mul_i32 s1, s0, s1
	v_lshl_add_u32 v2, s0, 4, v0
	s_sub_i32 s0, s6, s1
	v_lshl_add_u32 v4, s0, 4, v3
	v_cmp_gt_i32_e32 vcc, s9, v4
	v_cmp_gt_i32_e64 s[0:1], s10, v2
	s_and_b64 s[0:1], vcc, s[0:1]
	s_and_saveexec_b64 s[6:7], s[0:1]
	s_cbranch_execz .LBB37_6
; %bb.1:
	s_load_dwordx4 s[12:15], s[4:5], 0x38
	s_load_dword s6, s[4:5], 0x10
	s_load_dwordx2 s[16:17], s[4:5], 0x48
	s_mov_b32 s3, 0
	s_lshl_b64 s[0:1], s[2:3], 3
	s_waitcnt lgkmcnt(0)
	s_add_u32 s2, s12, s0
	s_addc_u32 s3, s13, s1
	s_load_dwordx2 s[2:3], s[2:3], 0x0
	s_lshl_b64 s[12:13], s[14:15], 2
	v_ashrrev_i32_e32 v5, 31, v4
	v_ashrrev_i32_e32 v3, 31, v2
	v_mul_lo_u32 v6, v2, s17
	s_waitcnt lgkmcnt(0)
	s_add_u32 s2, s2, s12
	s_addc_u32 s3, s3, s13
	v_mul_lo_u32 v7, v3, s16
	v_mad_u64_u32 v[0:1], s[12:13], v2, s16, v[4:5]
	v_add3_u32 v1, v7, v1, v6
	v_cmp_neq_f32_e64 s[12:13], s6, 0
	s_and_b64 vcc, exec, s[12:13]
	v_lshlrev_b64 v[0:1], 2, v[0:1]
	s_cbranch_vccz .LBB37_7
; %bb.2:
	s_load_dwordx4 s[12:15], s[4:5], 0x18
	s_load_dwordx2 s[16:17], s[4:5], 0x28
	s_waitcnt lgkmcnt(0)
	s_add_u32 s0, s12, s0
	s_addc_u32 s1, s13, s1
	s_load_dwordx2 s[0:1], s[0:1], 0x0
	s_lshl_b64 s[4:5], s[14:15], 2
	s_waitcnt lgkmcnt(0)
	s_add_u32 s4, s0, s4
	s_addc_u32 s5, s1, s5
	s_cmpk_eq_i32 s8, 0x6f
	s_cselect_b64 vcc, -1, 0
	v_cndmask_b32_e32 v6, v4, v2, vcc
	v_cndmask_b32_e32 v7, v5, v3, vcc
	;; [unrolled: 1-line block ×4, first 2 shown]
	v_mul_lo_u32 v8, v6, s17
	v_mad_u64_u32 v[4:5], s[0:1], v6, s16, 0
	v_mul_lo_u32 v6, v7, s16
	v_add3_u32 v5, v5, v8, v6
	v_lshlrev_b64 v[4:5], 2, v[4:5]
	v_mov_b32_e32 v6, s5
	v_add_co_u32_e32 v4, vcc, s4, v4
	v_addc_co_u32_e32 v5, vcc, v6, v5, vcc
	v_lshlrev_b64 v[2:3], 2, v[2:3]
	v_add_co_u32_e32 v2, vcc, v4, v2
	v_addc_co_u32_e32 v3, vcc, v5, v3, vcc
	global_load_dword v4, v[2:3], off
	v_mov_b32_e32 v3, s3
	v_add_co_u32_e32 v2, vcc, s2, v0
	v_cmp_neq_f32_e64 s[0:1], s11, 0
	v_addc_co_u32_e32 v3, vcc, v3, v1, vcc
	s_and_b64 vcc, exec, s[0:1]
	s_waitcnt vmcnt(0)
	v_mul_f32_e32 v4, s6, v4
	s_cbranch_vccz .LBB37_11
; %bb.3:
	global_load_dword v5, v[2:3], off
	s_waitcnt vmcnt(0)
	v_fma_f32 v5, s11, v5, v4
	global_store_dword v[2:3], v5, off
	s_cbranch_execnz .LBB37_5
.LBB37_4:
	global_store_dword v[2:3], v4, off
.LBB37_5:
	s_cbranch_execz .LBB37_8
.LBB37_6:
	s_endpgm
.LBB37_7:
.LBB37_8:
	v_cmp_eq_f32_e64 s[0:1], s11, 0
	v_mov_b32_e32 v2, 0
	s_and_b64 vcc, exec, s[0:1]
	s_cbranch_vccnz .LBB37_10
; %bb.9:
	v_mov_b32_e32 v3, s3
	v_add_co_u32_e32 v2, vcc, s2, v0
	v_addc_co_u32_e32 v3, vcc, v3, v1, vcc
	global_load_dword v2, v[2:3], off
	s_waitcnt vmcnt(0)
	v_mul_f32_e32 v2, s11, v2
.LBB37_10:
	v_mov_b32_e32 v3, s3
	v_add_co_u32_e32 v0, vcc, s2, v0
	v_addc_co_u32_e32 v1, vcc, v3, v1, vcc
	global_store_dword v[0:1], v2, off
	s_endpgm
.LBB37_11:
	s_branch .LBB37_4
	.section	.rodata,"a",@progbits
	.p2align	6, 0x0
	.amdhsa_kernel _ZL27rocblas_geam_inplace_deviceILi16ELi16EfPKPKfPKPfEv18rocblas_operation_iiT1_S8_T2_lllT3_llli
		.amdhsa_group_segment_fixed_size 0
		.amdhsa_private_segment_fixed_size 0
		.amdhsa_kernarg_size 92
		.amdhsa_user_sgpr_count 6
		.amdhsa_user_sgpr_private_segment_buffer 1
		.amdhsa_user_sgpr_dispatch_ptr 0
		.amdhsa_user_sgpr_queue_ptr 0
		.amdhsa_user_sgpr_kernarg_segment_ptr 1
		.amdhsa_user_sgpr_dispatch_id 0
		.amdhsa_user_sgpr_flat_scratch_init 0
		.amdhsa_user_sgpr_kernarg_preload_length 0
		.amdhsa_user_sgpr_kernarg_preload_offset 0
		.amdhsa_user_sgpr_private_segment_size 0
		.amdhsa_uses_dynamic_stack 0
		.amdhsa_system_sgpr_private_segment_wavefront_offset 0
		.amdhsa_system_sgpr_workgroup_id_x 1
		.amdhsa_system_sgpr_workgroup_id_y 0
		.amdhsa_system_sgpr_workgroup_id_z 1
		.amdhsa_system_sgpr_workgroup_info 0
		.amdhsa_system_vgpr_workitem_id 1
		.amdhsa_next_free_vgpr 9
		.amdhsa_next_free_sgpr 18
		.amdhsa_accum_offset 12
		.amdhsa_reserve_vcc 1
		.amdhsa_reserve_flat_scratch 0
		.amdhsa_float_round_mode_32 0
		.amdhsa_float_round_mode_16_64 0
		.amdhsa_float_denorm_mode_32 3
		.amdhsa_float_denorm_mode_16_64 3
		.amdhsa_dx10_clamp 1
		.amdhsa_ieee_mode 1
		.amdhsa_fp16_overflow 0
		.amdhsa_tg_split 0
		.amdhsa_exception_fp_ieee_invalid_op 0
		.amdhsa_exception_fp_denorm_src 0
		.amdhsa_exception_fp_ieee_div_zero 0
		.amdhsa_exception_fp_ieee_overflow 0
		.amdhsa_exception_fp_ieee_underflow 0
		.amdhsa_exception_fp_ieee_inexact 0
		.amdhsa_exception_int_div_zero 0
	.end_amdhsa_kernel
	.section	.text._ZL27rocblas_geam_inplace_deviceILi16ELi16EfPKPKfPKPfEv18rocblas_operation_iiT1_S8_T2_lllT3_llli,"axG",@progbits,_ZL27rocblas_geam_inplace_deviceILi16ELi16EfPKPKfPKPfEv18rocblas_operation_iiT1_S8_T2_lllT3_llli,comdat
.Lfunc_end37:
	.size	_ZL27rocblas_geam_inplace_deviceILi16ELi16EfPKPKfPKPfEv18rocblas_operation_iiT1_S8_T2_lllT3_llli, .Lfunc_end37-_ZL27rocblas_geam_inplace_deviceILi16ELi16EfPKPKfPKPfEv18rocblas_operation_iiT1_S8_T2_lllT3_llli
                                        ; -- End function
	.section	.AMDGPU.csdata,"",@progbits
; Kernel info:
; codeLenInByte = 632
; NumSgprs: 22
; NumVgprs: 9
; NumAgprs: 0
; TotalNumVgprs: 9
; ScratchSize: 0
; MemoryBound: 0
; FloatMode: 240
; IeeeMode: 1
; LDSByteSize: 0 bytes/workgroup (compile time only)
; SGPRBlocks: 2
; VGPRBlocks: 1
; NumSGPRsForWavesPerEU: 22
; NumVGPRsForWavesPerEU: 9
; AccumOffset: 12
; Occupancy: 8
; WaveLimiterHint : 1
; COMPUTE_PGM_RSRC2:SCRATCH_EN: 0
; COMPUTE_PGM_RSRC2:USER_SGPR: 6
; COMPUTE_PGM_RSRC2:TRAP_HANDLER: 0
; COMPUTE_PGM_RSRC2:TGID_X_EN: 1
; COMPUTE_PGM_RSRC2:TGID_Y_EN: 0
; COMPUTE_PGM_RSRC2:TGID_Z_EN: 1
; COMPUTE_PGM_RSRC2:TIDIG_COMP_CNT: 1
; COMPUTE_PGM_RSRC3_GFX90A:ACCUM_OFFSET: 2
; COMPUTE_PGM_RSRC3_GFX90A:TG_SPLIT: 0
	.section	.text._ZL27rocblas_geam_inplace_deviceILi16ELi16EPKfPKS1_PKPfEv18rocblas_operation_iiT1_S8_T2_lllT3_llli,"axG",@progbits,_ZL27rocblas_geam_inplace_deviceILi16ELi16EPKfPKS1_PKPfEv18rocblas_operation_iiT1_S8_T2_lllT3_llli,comdat
	.globl	_ZL27rocblas_geam_inplace_deviceILi16ELi16EPKfPKS1_PKPfEv18rocblas_operation_iiT1_S8_T2_lllT3_llli ; -- Begin function _ZL27rocblas_geam_inplace_deviceILi16ELi16EPKfPKS1_PKPfEv18rocblas_operation_iiT1_S8_T2_lllT3_llli
	.p2align	8
	.type	_ZL27rocblas_geam_inplace_deviceILi16ELi16EPKfPKS1_PKPfEv18rocblas_operation_iiT1_S8_T2_lllT3_llli,@function
_ZL27rocblas_geam_inplace_deviceILi16ELi16EPKfPKS1_PKPfEv18rocblas_operation_iiT1_S8_T2_lllT3_llli: ; @_ZL27rocblas_geam_inplace_deviceILi16ELi16EPKfPKS1_PKPfEv18rocblas_operation_iiT1_S8_T2_lllT3_llli
; %bb.0:
	s_load_dwordx4 s[16:19], s[4:5], 0x0
	s_mov_b32 s2, s7
	v_and_b32_e32 v3, 0x3ff, v0
	v_bfe_u32 v0, v0, 10, 10
	s_waitcnt lgkmcnt(0)
	s_add_i32 s0, s17, -1
	s_ashr_i32 s1, s0, 31
	s_lshr_b32 s1, s1, 28
	s_add_i32 s0, s0, s1
	s_ashr_i32 s0, s0, 4
	s_add_i32 s1, s0, 1
	v_cvt_f32_u32_e32 v1, s1
	s_not_b32 s0, s0
	v_rcp_iflag_f32_e32 v1, v1
	v_mul_f32_e32 v1, 0x4f7ffffe, v1
	v_cvt_u32_f32_e32 v1, v1
	v_readfirstlane_b32 s3, v1
	s_mul_i32 s0, s0, s3
	s_mul_hi_u32 s0, s3, s0
	s_add_i32 s3, s3, s0
	s_mul_hi_u32 s0, s6, s3
	s_mul_i32 s3, s0, s1
	s_sub_i32 s3, s6, s3
	s_add_i32 s7, s0, 1
	s_sub_i32 s8, s3, s1
	s_cmp_ge_u32 s3, s1
	s_cselect_b32 s0, s7, s0
	s_cselect_b32 s3, s8, s3
	s_add_i32 s7, s0, 1
	s_cmp_ge_u32 s3, s1
	s_cselect_b32 s0, s7, s0
	s_mul_i32 s1, s0, s1
	v_lshl_add_u32 v2, s0, 4, v0
	s_sub_i32 s0, s6, s1
	v_lshl_add_u32 v4, s0, 4, v3
	v_cmp_gt_i32_e32 vcc, s17, v4
	v_cmp_gt_i32_e64 s[0:1], s18, v2
	s_and_b64 s[0:1], vcc, s[0:1]
	s_and_saveexec_b64 s[6:7], s[0:1]
	s_cbranch_execz .LBB38_6
; %bb.1:
	s_load_dwordx4 s[20:23], s[4:5], 0x40
	s_load_dwordx8 s[8:15], s[4:5], 0x10
	s_load_dwordx2 s[18:19], s[4:5], 0x50
	s_mov_b32 s3, 0
	s_lshl_b64 s[0:1], s[2:3], 3
	s_waitcnt lgkmcnt(0)
	s_add_u32 s2, s20, s0
	s_addc_u32 s3, s21, s1
	s_load_dwordx2 s[20:21], s[2:3], 0x0
	s_nop 0
	s_load_dword s3, s[8:9], 0x0
	s_load_dword s7, s[10:11], 0x0
	s_lshl_b64 s[8:9], s[22:23], 2
	v_ashrrev_i32_e32 v5, 31, v4
	v_ashrrev_i32_e32 v3, 31, v2
	s_waitcnt lgkmcnt(0)
	s_add_u32 s2, s20, s8
	s_addc_u32 s6, s21, s9
	v_mul_lo_u32 v6, v2, s19
	v_mul_lo_u32 v7, v3, s18
	v_mad_u64_u32 v[0:1], s[8:9], v2, s18, v[4:5]
	v_add3_u32 v1, v7, v1, v6
	v_cmp_neq_f32_e64 s[8:9], s7, 0
	s_and_b64 vcc, exec, s[8:9]
	v_lshlrev_b64 v[0:1], 2, v[0:1]
	s_cbranch_vccz .LBB38_7
; %bb.2:
	s_add_u32 s0, s12, s0
	s_addc_u32 s1, s13, s1
	s_load_dwordx2 s[8:9], s[0:1], 0x0
	s_load_dwordx2 s[10:11], s[4:5], 0x30
	s_lshl_b64 s[0:1], s[14:15], 2
	s_waitcnt lgkmcnt(0)
	s_add_u32 s4, s8, s0
	s_addc_u32 s5, s9, s1
	s_cmpk_eq_i32 s16, 0x6f
	s_cselect_b64 vcc, -1, 0
	v_cndmask_b32_e32 v6, v4, v2, vcc
	v_cndmask_b32_e32 v7, v5, v3, vcc
	;; [unrolled: 1-line block ×4, first 2 shown]
	v_mul_lo_u32 v7, v7, s10
	v_mul_lo_u32 v8, v6, s11
	v_mad_u64_u32 v[4:5], s[0:1], v6, s10, 0
	v_add3_u32 v5, v5, v8, v7
	v_lshlrev_b64 v[4:5], 2, v[4:5]
	v_mov_b32_e32 v6, s5
	v_add_co_u32_e32 v4, vcc, s4, v4
	v_addc_co_u32_e32 v5, vcc, v6, v5, vcc
	v_lshlrev_b64 v[2:3], 2, v[2:3]
	v_add_co_u32_e32 v2, vcc, v4, v2
	v_addc_co_u32_e32 v3, vcc, v5, v3, vcc
	global_load_dword v4, v[2:3], off
	v_mov_b32_e32 v3, s6
	v_add_co_u32_e32 v2, vcc, s2, v0
	v_cmp_neq_f32_e64 s[0:1], s3, 0
	v_addc_co_u32_e32 v3, vcc, v3, v1, vcc
	s_and_b64 vcc, exec, s[0:1]
	s_waitcnt vmcnt(0)
	v_mul_f32_e32 v4, s7, v4
	s_cbranch_vccz .LBB38_11
; %bb.3:
	global_load_dword v5, v[2:3], off
	s_waitcnt vmcnt(0)
	v_fma_f32 v5, s3, v5, v4
	global_store_dword v[2:3], v5, off
	s_cbranch_execnz .LBB38_5
.LBB38_4:
	global_store_dword v[2:3], v4, off
.LBB38_5:
	s_cbranch_execz .LBB38_8
.LBB38_6:
	s_endpgm
.LBB38_7:
.LBB38_8:
	v_cmp_eq_f32_e64 s[0:1], s3, 0
	v_mov_b32_e32 v2, 0
	s_and_b64 vcc, exec, s[0:1]
	s_cbranch_vccnz .LBB38_10
; %bb.9:
	v_mov_b32_e32 v3, s6
	v_add_co_u32_e32 v2, vcc, s2, v0
	v_addc_co_u32_e32 v3, vcc, v3, v1, vcc
	global_load_dword v2, v[2:3], off
	s_waitcnt vmcnt(0)
	v_mul_f32_e32 v2, s3, v2
.LBB38_10:
	v_mov_b32_e32 v3, s6
	v_add_co_u32_e32 v0, vcc, s2, v0
	v_addc_co_u32_e32 v1, vcc, v3, v1, vcc
	global_store_dword v[0:1], v2, off
	s_endpgm
.LBB38_11:
	s_branch .LBB38_4
	.section	.rodata,"a",@progbits
	.p2align	6, 0x0
	.amdhsa_kernel _ZL27rocblas_geam_inplace_deviceILi16ELi16EPKfPKS1_PKPfEv18rocblas_operation_iiT1_S8_T2_lllT3_llli
		.amdhsa_group_segment_fixed_size 0
		.amdhsa_private_segment_fixed_size 0
		.amdhsa_kernarg_size 100
		.amdhsa_user_sgpr_count 6
		.amdhsa_user_sgpr_private_segment_buffer 1
		.amdhsa_user_sgpr_dispatch_ptr 0
		.amdhsa_user_sgpr_queue_ptr 0
		.amdhsa_user_sgpr_kernarg_segment_ptr 1
		.amdhsa_user_sgpr_dispatch_id 0
		.amdhsa_user_sgpr_flat_scratch_init 0
		.amdhsa_user_sgpr_kernarg_preload_length 0
		.amdhsa_user_sgpr_kernarg_preload_offset 0
		.amdhsa_user_sgpr_private_segment_size 0
		.amdhsa_uses_dynamic_stack 0
		.amdhsa_system_sgpr_private_segment_wavefront_offset 0
		.amdhsa_system_sgpr_workgroup_id_x 1
		.amdhsa_system_sgpr_workgroup_id_y 0
		.amdhsa_system_sgpr_workgroup_id_z 1
		.amdhsa_system_sgpr_workgroup_info 0
		.amdhsa_system_vgpr_workitem_id 1
		.amdhsa_next_free_vgpr 9
		.amdhsa_next_free_sgpr 24
		.amdhsa_accum_offset 12
		.amdhsa_reserve_vcc 1
		.amdhsa_reserve_flat_scratch 0
		.amdhsa_float_round_mode_32 0
		.amdhsa_float_round_mode_16_64 0
		.amdhsa_float_denorm_mode_32 3
		.amdhsa_float_denorm_mode_16_64 3
		.amdhsa_dx10_clamp 1
		.amdhsa_ieee_mode 1
		.amdhsa_fp16_overflow 0
		.amdhsa_tg_split 0
		.amdhsa_exception_fp_ieee_invalid_op 0
		.amdhsa_exception_fp_denorm_src 0
		.amdhsa_exception_fp_ieee_div_zero 0
		.amdhsa_exception_fp_ieee_overflow 0
		.amdhsa_exception_fp_ieee_underflow 0
		.amdhsa_exception_fp_ieee_inexact 0
		.amdhsa_exception_int_div_zero 0
	.end_amdhsa_kernel
	.section	.text._ZL27rocblas_geam_inplace_deviceILi16ELi16EPKfPKS1_PKPfEv18rocblas_operation_iiT1_S8_T2_lllT3_llli,"axG",@progbits,_ZL27rocblas_geam_inplace_deviceILi16ELi16EPKfPKS1_PKPfEv18rocblas_operation_iiT1_S8_T2_lllT3_llli,comdat
.Lfunc_end38:
	.size	_ZL27rocblas_geam_inplace_deviceILi16ELi16EPKfPKS1_PKPfEv18rocblas_operation_iiT1_S8_T2_lllT3_llli, .Lfunc_end38-_ZL27rocblas_geam_inplace_deviceILi16ELi16EPKfPKS1_PKPfEv18rocblas_operation_iiT1_S8_T2_lllT3_llli
                                        ; -- End function
	.section	.AMDGPU.csdata,"",@progbits
; Kernel info:
; codeLenInByte = 640
; NumSgprs: 28
; NumVgprs: 9
; NumAgprs: 0
; TotalNumVgprs: 9
; ScratchSize: 0
; MemoryBound: 0
; FloatMode: 240
; IeeeMode: 1
; LDSByteSize: 0 bytes/workgroup (compile time only)
; SGPRBlocks: 3
; VGPRBlocks: 1
; NumSGPRsForWavesPerEU: 28
; NumVGPRsForWavesPerEU: 9
; AccumOffset: 12
; Occupancy: 8
; WaveLimiterHint : 1
; COMPUTE_PGM_RSRC2:SCRATCH_EN: 0
; COMPUTE_PGM_RSRC2:USER_SGPR: 6
; COMPUTE_PGM_RSRC2:TRAP_HANDLER: 0
; COMPUTE_PGM_RSRC2:TGID_X_EN: 1
; COMPUTE_PGM_RSRC2:TGID_Y_EN: 0
; COMPUTE_PGM_RSRC2:TGID_Z_EN: 1
; COMPUTE_PGM_RSRC2:TIDIG_COMP_CNT: 1
; COMPUTE_PGM_RSRC3_GFX90A:ACCUM_OFFSET: 2
; COMPUTE_PGM_RSRC3_GFX90A:TG_SPLIT: 0
	.section	.text._ZL30rocblas_geam_1D_2matrix_deviceILi256EfPKPKfPKPfEvmT0_T1_llT2_lli,"axG",@progbits,_ZL30rocblas_geam_1D_2matrix_deviceILi256EfPKPKfPKPfEvmT0_T1_llT2_lli,comdat
	.globl	_ZL30rocblas_geam_1D_2matrix_deviceILi256EfPKPKfPKPfEvmT0_T1_llT2_lli ; -- Begin function _ZL30rocblas_geam_1D_2matrix_deviceILi256EfPKPKfPKPfEvmT0_T1_llT2_lli
	.p2align	8
	.type	_ZL30rocblas_geam_1D_2matrix_deviceILi256EfPKPKfPKPfEvmT0_T1_llT2_lli,@function
_ZL30rocblas_geam_1D_2matrix_deviceILi256EfPKPKfPKPfEvmT0_T1_llT2_lli: ; @_ZL30rocblas_geam_1D_2matrix_deviceILi256EfPKPKfPKPfEvmT0_T1_llT2_lli
; %bb.0:
	s_load_dword s2, s[4:5], 0x54
	s_load_dwordx2 s[0:1], s[4:5], 0x0
	v_mov_b32_e32 v1, 0
	v_mov_b32_e32 v2, s6
	s_waitcnt lgkmcnt(0)
	s_and_b32 s2, s2, 0xffff
	v_mad_u64_u32 v[2:3], s[2:3], s2, v2, v[0:1]
	v_cmp_gt_u64_e32 vcc, s[0:1], v[2:3]
	s_and_saveexec_b64 s[0:1], vcc
	s_cbranch_execz .LBB39_4
; %bb.1:
	s_load_dwordx4 s[0:3], s[4:5], 0x28
	s_load_dword s10, s[4:5], 0x8
	s_mov_b32 s8, s7
	s_mov_b32 s9, 0
	s_lshl_b64 s[6:7], s[8:9], 3
	s_waitcnt lgkmcnt(0)
	s_add_u32 s0, s0, s6
	s_addc_u32 s1, s1, s7
	s_load_dwordx2 s[0:1], s[0:1], 0x0
	v_cmp_eq_f32_e64 s[8:9], s10, 0
	s_and_b64 vcc, exec, s[8:9]
	v_lshlrev_b64 v[2:3], 2, v[2:3]
	s_cbranch_vccnz .LBB39_3
; %bb.2:
	s_load_dwordx4 s[12:15], s[4:5], 0x10
	s_waitcnt lgkmcnt(0)
	s_add_u32 s4, s12, s6
	s_addc_u32 s5, s13, s7
	s_load_dwordx2 s[4:5], s[4:5], 0x0
	s_lshl_b64 s[6:7], s[14:15], 2
	s_waitcnt lgkmcnt(0)
	s_add_u32 s4, s4, s6
	s_addc_u32 s5, s5, s7
	v_mov_b32_e32 v1, s5
	v_add_co_u32_e32 v0, vcc, s4, v2
	v_addc_co_u32_e32 v1, vcc, v1, v3, vcc
	global_load_dword v0, v[0:1], off
	s_waitcnt vmcnt(0)
	v_mul_f32_e32 v1, s10, v0
.LBB39_3:
	s_lshl_b64 s[2:3], s[2:3], 2
	s_waitcnt lgkmcnt(0)
	s_add_u32 s0, s0, s2
	s_addc_u32 s1, s1, s3
	v_mov_b32_e32 v0, s1
	v_add_co_u32_e32 v2, vcc, s0, v2
	v_addc_co_u32_e32 v3, vcc, v0, v3, vcc
	global_store_dword v[2:3], v1, off
.LBB39_4:
	s_endpgm
	.section	.rodata,"a",@progbits
	.p2align	6, 0x0
	.amdhsa_kernel _ZL30rocblas_geam_1D_2matrix_deviceILi256EfPKPKfPKPfEvmT0_T1_llT2_lli
		.amdhsa_group_segment_fixed_size 0
		.amdhsa_private_segment_fixed_size 0
		.amdhsa_kernarg_size 328
		.amdhsa_user_sgpr_count 6
		.amdhsa_user_sgpr_private_segment_buffer 1
		.amdhsa_user_sgpr_dispatch_ptr 0
		.amdhsa_user_sgpr_queue_ptr 0
		.amdhsa_user_sgpr_kernarg_segment_ptr 1
		.amdhsa_user_sgpr_dispatch_id 0
		.amdhsa_user_sgpr_flat_scratch_init 0
		.amdhsa_user_sgpr_kernarg_preload_length 0
		.amdhsa_user_sgpr_kernarg_preload_offset 0
		.amdhsa_user_sgpr_private_segment_size 0
		.amdhsa_uses_dynamic_stack 0
		.amdhsa_system_sgpr_private_segment_wavefront_offset 0
		.amdhsa_system_sgpr_workgroup_id_x 1
		.amdhsa_system_sgpr_workgroup_id_y 0
		.amdhsa_system_sgpr_workgroup_id_z 1
		.amdhsa_system_sgpr_workgroup_info 0
		.amdhsa_system_vgpr_workitem_id 0
		.amdhsa_next_free_vgpr 4
		.amdhsa_next_free_sgpr 16
		.amdhsa_accum_offset 4
		.amdhsa_reserve_vcc 1
		.amdhsa_reserve_flat_scratch 0
		.amdhsa_float_round_mode_32 0
		.amdhsa_float_round_mode_16_64 0
		.amdhsa_float_denorm_mode_32 3
		.amdhsa_float_denorm_mode_16_64 3
		.amdhsa_dx10_clamp 1
		.amdhsa_ieee_mode 1
		.amdhsa_fp16_overflow 0
		.amdhsa_tg_split 0
		.amdhsa_exception_fp_ieee_invalid_op 0
		.amdhsa_exception_fp_denorm_src 0
		.amdhsa_exception_fp_ieee_div_zero 0
		.amdhsa_exception_fp_ieee_overflow 0
		.amdhsa_exception_fp_ieee_underflow 0
		.amdhsa_exception_fp_ieee_inexact 0
		.amdhsa_exception_int_div_zero 0
	.end_amdhsa_kernel
	.section	.text._ZL30rocblas_geam_1D_2matrix_deviceILi256EfPKPKfPKPfEvmT0_T1_llT2_lli,"axG",@progbits,_ZL30rocblas_geam_1D_2matrix_deviceILi256EfPKPKfPKPfEvmT0_T1_llT2_lli,comdat
.Lfunc_end39:
	.size	_ZL30rocblas_geam_1D_2matrix_deviceILi256EfPKPKfPKPfEvmT0_T1_llT2_lli, .Lfunc_end39-_ZL30rocblas_geam_1D_2matrix_deviceILi256EfPKPKfPKPfEvmT0_T1_llT2_lli
                                        ; -- End function
	.section	.AMDGPU.csdata,"",@progbits
; Kernel info:
; codeLenInByte = 240
; NumSgprs: 20
; NumVgprs: 4
; NumAgprs: 0
; TotalNumVgprs: 4
; ScratchSize: 0
; MemoryBound: 0
; FloatMode: 240
; IeeeMode: 1
; LDSByteSize: 0 bytes/workgroup (compile time only)
; SGPRBlocks: 2
; VGPRBlocks: 0
; NumSGPRsForWavesPerEU: 20
; NumVGPRsForWavesPerEU: 4
; AccumOffset: 4
; Occupancy: 8
; WaveLimiterHint : 1
; COMPUTE_PGM_RSRC2:SCRATCH_EN: 0
; COMPUTE_PGM_RSRC2:USER_SGPR: 6
; COMPUTE_PGM_RSRC2:TRAP_HANDLER: 0
; COMPUTE_PGM_RSRC2:TGID_X_EN: 1
; COMPUTE_PGM_RSRC2:TGID_Y_EN: 0
; COMPUTE_PGM_RSRC2:TGID_Z_EN: 1
; COMPUTE_PGM_RSRC2:TIDIG_COMP_CNT: 0
; COMPUTE_PGM_RSRC3_GFX90A:ACCUM_OFFSET: 0
; COMPUTE_PGM_RSRC3_GFX90A:TG_SPLIT: 0
	.section	.text._ZL27rocblas_geam_2matrix_deviceILi16ELi16EfPKPKfPKPfEv18rocblas_operation_iiT1_T2_lllT3_llli,"axG",@progbits,_ZL27rocblas_geam_2matrix_deviceILi16ELi16EfPKPKfPKPfEv18rocblas_operation_iiT1_T2_lllT3_llli,comdat
	.globl	_ZL27rocblas_geam_2matrix_deviceILi16ELi16EfPKPKfPKPfEv18rocblas_operation_iiT1_T2_lllT3_llli ; -- Begin function _ZL27rocblas_geam_2matrix_deviceILi16ELi16EfPKPKfPKPfEv18rocblas_operation_iiT1_T2_lllT3_llli
	.p2align	8
	.type	_ZL27rocblas_geam_2matrix_deviceILi16ELi16EfPKPKfPKPfEv18rocblas_operation_iiT1_T2_lllT3_llli,@function
_ZL27rocblas_geam_2matrix_deviceILi16ELi16EfPKPKfPKPfEv18rocblas_operation_iiT1_T2_lllT3_llli: ; @_ZL27rocblas_geam_2matrix_deviceILi16ELi16EfPKPKfPKPfEv18rocblas_operation_iiT1_T2_lllT3_llli
; %bb.0:
	s_load_dwordx4 s[8:11], s[4:5], 0x0
	s_mov_b32 s12, s7
	v_and_b32_e32 v3, 0x3ff, v0
	v_bfe_u32 v0, v0, 10, 10
	s_waitcnt lgkmcnt(0)
	s_add_i32 s0, s9, -1
	s_ashr_i32 s1, s0, 31
	s_lshr_b32 s1, s1, 28
	s_add_i32 s0, s0, s1
	s_ashr_i32 s0, s0, 4
	s_add_i32 s1, s0, 1
	v_cvt_f32_u32_e32 v1, s1
	s_not_b32 s0, s0
	v_rcp_iflag_f32_e32 v1, v1
	v_mul_f32_e32 v1, 0x4f7ffffe, v1
	v_cvt_u32_f32_e32 v1, v1
	v_readfirstlane_b32 s2, v1
	s_mul_i32 s0, s0, s2
	s_mul_hi_u32 s0, s2, s0
	s_add_i32 s2, s2, s0
	s_mul_hi_u32 s0, s6, s2
	s_mul_i32 s2, s0, s1
	s_sub_i32 s2, s6, s2
	s_add_i32 s3, s0, 1
	s_sub_i32 s7, s2, s1
	s_cmp_ge_u32 s2, s1
	s_cselect_b32 s0, s3, s0
	s_cselect_b32 s2, s7, s2
	s_add_i32 s3, s0, 1
	s_cmp_ge_u32 s2, s1
	s_cselect_b32 s0, s3, s0
	s_mul_i32 s1, s0, s1
	v_lshl_add_u32 v2, s0, 4, v0
	s_sub_i32 s0, s6, s1
	v_lshl_add_u32 v0, s0, 4, v3
	v_cmp_gt_i32_e32 vcc, s9, v0
	v_cmp_gt_i32_e64 s[0:1], s10, v2
	s_and_b64 s[0:1], vcc, s[0:1]
	s_and_saveexec_b64 s[2:3], s[0:1]
	s_cbranch_execz .LBB40_4
; %bb.1:
	s_load_dwordx4 s[0:3], s[4:5], 0x30
	s_load_dwordx2 s[6:7], s[4:5], 0x40
	s_mov_b32 s13, 0
	s_lshl_b64 s[12:13], s[12:13], 3
	v_cmp_eq_f32_e64 s[14:15], s11, 0
	s_waitcnt lgkmcnt(0)
	s_add_u32 s0, s0, s12
	s_addc_u32 s1, s1, s13
	s_load_dwordx2 s[0:1], s[0:1], 0x0
	v_ashrrev_i32_e32 v1, 31, v0
	v_ashrrev_i32_e32 v3, 31, v2
	v_mov_b32_e32 v4, 0
	s_and_b64 vcc, exec, s[14:15]
	s_cbranch_vccnz .LBB40_3
; %bb.2:
	s_load_dwordx4 s[16:19], s[4:5], 0x10
	s_load_dwordx2 s[14:15], s[4:5], 0x20
	s_waitcnt lgkmcnt(0)
	s_add_u32 s4, s16, s12
	s_addc_u32 s5, s17, s13
	s_load_dwordx2 s[4:5], s[4:5], 0x0
	s_lshl_b64 s[12:13], s[18:19], 2
	s_waitcnt lgkmcnt(0)
	s_add_u32 s9, s4, s12
	s_addc_u32 s10, s5, s13
	s_cmpk_eq_i32 s8, 0x6f
	s_cselect_b64 vcc, -1, 0
	v_cndmask_b32_e32 v6, v0, v2, vcc
	v_cndmask_b32_e32 v8, v1, v3, vcc
	v_mul_lo_u32 v9, v6, s15
	v_mad_u64_u32 v[6:7], s[4:5], v6, s14, 0
	v_mul_lo_u32 v8, v8, s14
	v_add3_u32 v7, v7, v9, v8
	v_lshlrev_b64 v[6:7], 2, v[6:7]
	v_cndmask_b32_e32 v5, v3, v1, vcc
	v_cndmask_b32_e32 v4, v2, v0, vcc
	v_mov_b32_e32 v8, s10
	v_add_co_u32_e32 v6, vcc, s9, v6
	v_addc_co_u32_e32 v7, vcc, v8, v7, vcc
	v_lshlrev_b64 v[4:5], 2, v[4:5]
	v_add_co_u32_e32 v4, vcc, v6, v4
	v_addc_co_u32_e32 v5, vcc, v7, v5, vcc
	global_load_dword v4, v[4:5], off
	s_waitcnt vmcnt(0)
	v_mul_f32_e32 v4, s11, v4
.LBB40_3:
	s_lshl_b64 s[2:3], s[2:3], 2
	s_waitcnt lgkmcnt(0)
	s_add_u32 s2, s0, s2
	s_addc_u32 s3, s1, s3
	v_mul_lo_u32 v5, v3, s6
	v_mul_lo_u32 v6, v2, s7
	v_mad_u64_u32 v[2:3], s[0:1], v2, s6, 0
	v_add3_u32 v3, v3, v6, v5
	v_lshlrev_b64 v[2:3], 2, v[2:3]
	v_mov_b32_e32 v5, s3
	v_add_co_u32_e32 v2, vcc, s2, v2
	v_addc_co_u32_e32 v3, vcc, v5, v3, vcc
	v_lshlrev_b64 v[0:1], 2, v[0:1]
	v_add_co_u32_e32 v0, vcc, v2, v0
	v_addc_co_u32_e32 v1, vcc, v3, v1, vcc
	global_store_dword v[0:1], v4, off
.LBB40_4:
	s_endpgm
	.section	.rodata,"a",@progbits
	.p2align	6, 0x0
	.amdhsa_kernel _ZL27rocblas_geam_2matrix_deviceILi16ELi16EfPKPKfPKPfEv18rocblas_operation_iiT1_T2_lllT3_llli
		.amdhsa_group_segment_fixed_size 0
		.amdhsa_private_segment_fixed_size 0
		.amdhsa_kernarg_size 84
		.amdhsa_user_sgpr_count 6
		.amdhsa_user_sgpr_private_segment_buffer 1
		.amdhsa_user_sgpr_dispatch_ptr 0
		.amdhsa_user_sgpr_queue_ptr 0
		.amdhsa_user_sgpr_kernarg_segment_ptr 1
		.amdhsa_user_sgpr_dispatch_id 0
		.amdhsa_user_sgpr_flat_scratch_init 0
		.amdhsa_user_sgpr_kernarg_preload_length 0
		.amdhsa_user_sgpr_kernarg_preload_offset 0
		.amdhsa_user_sgpr_private_segment_size 0
		.amdhsa_uses_dynamic_stack 0
		.amdhsa_system_sgpr_private_segment_wavefront_offset 0
		.amdhsa_system_sgpr_workgroup_id_x 1
		.amdhsa_system_sgpr_workgroup_id_y 0
		.amdhsa_system_sgpr_workgroup_id_z 1
		.amdhsa_system_sgpr_workgroup_info 0
		.amdhsa_system_vgpr_workitem_id 1
		.amdhsa_next_free_vgpr 10
		.amdhsa_next_free_sgpr 20
		.amdhsa_accum_offset 12
		.amdhsa_reserve_vcc 1
		.amdhsa_reserve_flat_scratch 0
		.amdhsa_float_round_mode_32 0
		.amdhsa_float_round_mode_16_64 0
		.amdhsa_float_denorm_mode_32 3
		.amdhsa_float_denorm_mode_16_64 3
		.amdhsa_dx10_clamp 1
		.amdhsa_ieee_mode 1
		.amdhsa_fp16_overflow 0
		.amdhsa_tg_split 0
		.amdhsa_exception_fp_ieee_invalid_op 0
		.amdhsa_exception_fp_denorm_src 0
		.amdhsa_exception_fp_ieee_div_zero 0
		.amdhsa_exception_fp_ieee_overflow 0
		.amdhsa_exception_fp_ieee_underflow 0
		.amdhsa_exception_fp_ieee_inexact 0
		.amdhsa_exception_int_div_zero 0
	.end_amdhsa_kernel
	.section	.text._ZL27rocblas_geam_2matrix_deviceILi16ELi16EfPKPKfPKPfEv18rocblas_operation_iiT1_T2_lllT3_llli,"axG",@progbits,_ZL27rocblas_geam_2matrix_deviceILi16ELi16EfPKPKfPKPfEv18rocblas_operation_iiT1_T2_lllT3_llli,comdat
.Lfunc_end40:
	.size	_ZL27rocblas_geam_2matrix_deviceILi16ELi16EfPKPKfPKPfEv18rocblas_operation_iiT1_T2_lllT3_llli, .Lfunc_end40-_ZL27rocblas_geam_2matrix_deviceILi16ELi16EfPKPKfPKPfEv18rocblas_operation_iiT1_T2_lllT3_llli
                                        ; -- End function
	.section	.AMDGPU.csdata,"",@progbits
; Kernel info:
; codeLenInByte = 516
; NumSgprs: 24
; NumVgprs: 10
; NumAgprs: 0
; TotalNumVgprs: 10
; ScratchSize: 0
; MemoryBound: 0
; FloatMode: 240
; IeeeMode: 1
; LDSByteSize: 0 bytes/workgroup (compile time only)
; SGPRBlocks: 2
; VGPRBlocks: 1
; NumSGPRsForWavesPerEU: 24
; NumVGPRsForWavesPerEU: 10
; AccumOffset: 12
; Occupancy: 8
; WaveLimiterHint : 1
; COMPUTE_PGM_RSRC2:SCRATCH_EN: 0
; COMPUTE_PGM_RSRC2:USER_SGPR: 6
; COMPUTE_PGM_RSRC2:TRAP_HANDLER: 0
; COMPUTE_PGM_RSRC2:TGID_X_EN: 1
; COMPUTE_PGM_RSRC2:TGID_Y_EN: 0
; COMPUTE_PGM_RSRC2:TGID_Z_EN: 1
; COMPUTE_PGM_RSRC2:TIDIG_COMP_CNT: 1
; COMPUTE_PGM_RSRC3_GFX90A:ACCUM_OFFSET: 2
; COMPUTE_PGM_RSRC3_GFX90A:TG_SPLIT: 0
	.section	.text._ZL22rocblas_geam_1D_deviceILi256EfPKPKfPKPfEvmT0_T1_llS7_S8_llT2_lli,"axG",@progbits,_ZL22rocblas_geam_1D_deviceILi256EfPKPKfPKPfEvmT0_T1_llS7_S8_llT2_lli,comdat
	.globl	_ZL22rocblas_geam_1D_deviceILi256EfPKPKfPKPfEvmT0_T1_llS7_S8_llT2_lli ; -- Begin function _ZL22rocblas_geam_1D_deviceILi256EfPKPKfPKPfEvmT0_T1_llS7_S8_llT2_lli
	.p2align	8
	.type	_ZL22rocblas_geam_1D_deviceILi256EfPKPKfPKPfEvmT0_T1_llS7_S8_llT2_lli,@function
_ZL22rocblas_geam_1D_deviceILi256EfPKPKfPKPfEvmT0_T1_llS7_S8_llT2_lli: ; @_ZL22rocblas_geam_1D_deviceILi256EfPKPKfPKPfEvmT0_T1_llS7_S8_llT2_lli
; %bb.0:
	s_load_dword s2, s[4:5], 0x74
	s_load_dwordx2 s[0:1], s[4:5], 0x0
	v_mov_b32_e32 v1, 0
	v_mov_b32_e32 v2, s6
	s_waitcnt lgkmcnt(0)
	s_and_b32 s2, s2, 0xffff
	v_mad_u64_u32 v[2:3], s[2:3], s2, v2, v[0:1]
	v_cmp_gt_u64_e32 vcc, s[0:1], v[2:3]
	s_and_saveexec_b64 s[0:1], vcc
	s_cbranch_execz .LBB41_12
; %bb.1:
	s_load_dwordx4 s[0:3], s[4:5], 0x48
	s_load_dword s18, s[4:5], 0x8
	s_load_dword s19, s[4:5], 0x28
	s_mov_b32 s8, s7
	s_mov_b32 s9, 0
	s_lshl_b64 s[10:11], s[8:9], 3
	s_waitcnt lgkmcnt(0)
	s_add_u32 s0, s0, s10
	s_addc_u32 s1, s1, s11
	s_load_dwordx2 s[0:1], s[0:1], 0x0
	v_cmp_eq_f32_e64 s[8:9], s18, 0
	v_cmp_eq_f32_e64 s[14:15], s19, 0
	s_and_b64 s[6:7], s[8:9], s[14:15]
	s_and_b64 vcc, exec, s[6:7]
	s_cbranch_vccnz .LBB41_11
; %bb.2:
	v_cmp_neq_f32_e64 s[6:7], s18, 0
	s_mov_b64 s[12:13], 0
	s_and_b64 vcc, exec, s[8:9]
	s_mov_b64 s[8:9], 0
	s_cbranch_vccnz .LBB41_4
; %bb.3:
	s_load_dwordx4 s[20:23], s[4:5], 0x10
	s_waitcnt lgkmcnt(0)
	s_add_u32 s8, s20, s10
	s_addc_u32 s9, s21, s11
	s_load_dwordx2 s[8:9], s[8:9], 0x0
	s_lshl_b64 s[16:17], s[22:23], 2
	s_waitcnt lgkmcnt(0)
	s_add_u32 s8, s8, s16
	s_addc_u32 s9, s9, s17
.LBB41_4:
	v_cmp_neq_f32_e64 s[16:17], s19, 0
	s_and_b64 vcc, exec, s[14:15]
	s_cbranch_vccnz .LBB41_6
; %bb.5:
	s_load_dwordx4 s[12:15], s[4:5], 0x30
	s_waitcnt lgkmcnt(0)
	s_add_u32 s4, s12, s10
	s_addc_u32 s5, s13, s11
	s_load_dwordx2 s[4:5], s[4:5], 0x0
	s_lshl_b64 s[10:11], s[14:15], 2
	s_waitcnt lgkmcnt(0)
	s_add_u32 s12, s4, s10
	s_addc_u32 s13, s5, s11
.LBB41_6:
	s_andn2_b64 vcc, exec, s[16:17]
	v_mov_b32_e32 v0, 0
	v_mov_b32_e32 v1, 0
	s_cbranch_vccnz .LBB41_8
; %bb.7:
	v_lshlrev_b64 v[4:5], 2, v[2:3]
	v_mov_b32_e32 v1, s13
	v_add_co_u32_e32 v4, vcc, s12, v4
	v_addc_co_u32_e32 v5, vcc, v1, v5, vcc
	flat_load_dword v1, v[4:5]
	s_waitcnt vmcnt(0) lgkmcnt(0)
	v_mul_f32_e32 v1, s19, v1
.LBB41_8:
	s_andn2_b64 vcc, exec, s[6:7]
	s_cbranch_vccnz .LBB41_10
; %bb.9:
	v_lshlrev_b64 v[4:5], 2, v[2:3]
	v_mov_b32_e32 v0, s9
	v_add_co_u32_e32 v4, vcc, s8, v4
	v_addc_co_u32_e32 v5, vcc, v0, v5, vcc
	flat_load_dword v0, v[4:5]
	s_waitcnt vmcnt(0) lgkmcnt(0)
	v_mul_f32_e32 v0, s18, v0
.LBB41_10:
	v_add_f32_e32 v1, v1, v0
.LBB41_11:
	s_lshl_b64 s[2:3], s[2:3], 2
	s_waitcnt lgkmcnt(0)
	s_add_u32 s0, s0, s2
	s_addc_u32 s1, s1, s3
	v_lshlrev_b64 v[2:3], 2, v[2:3]
	v_mov_b32_e32 v0, s1
	v_add_co_u32_e32 v2, vcc, s0, v2
	v_addc_co_u32_e32 v3, vcc, v0, v3, vcc
	global_store_dword v[2:3], v1, off
.LBB41_12:
	s_endpgm
	.section	.rodata,"a",@progbits
	.p2align	6, 0x0
	.amdhsa_kernel _ZL22rocblas_geam_1D_deviceILi256EfPKPKfPKPfEvmT0_T1_llS7_S8_llT2_lli
		.amdhsa_group_segment_fixed_size 0
		.amdhsa_private_segment_fixed_size 0
		.amdhsa_kernarg_size 360
		.amdhsa_user_sgpr_count 6
		.amdhsa_user_sgpr_private_segment_buffer 1
		.amdhsa_user_sgpr_dispatch_ptr 0
		.amdhsa_user_sgpr_queue_ptr 0
		.amdhsa_user_sgpr_kernarg_segment_ptr 1
		.amdhsa_user_sgpr_dispatch_id 0
		.amdhsa_user_sgpr_flat_scratch_init 0
		.amdhsa_user_sgpr_kernarg_preload_length 0
		.amdhsa_user_sgpr_kernarg_preload_offset 0
		.amdhsa_user_sgpr_private_segment_size 0
		.amdhsa_uses_dynamic_stack 0
		.amdhsa_system_sgpr_private_segment_wavefront_offset 0
		.amdhsa_system_sgpr_workgroup_id_x 1
		.amdhsa_system_sgpr_workgroup_id_y 0
		.amdhsa_system_sgpr_workgroup_id_z 1
		.amdhsa_system_sgpr_workgroup_info 0
		.amdhsa_system_vgpr_workitem_id 0
		.amdhsa_next_free_vgpr 6
		.amdhsa_next_free_sgpr 24
		.amdhsa_accum_offset 8
		.amdhsa_reserve_vcc 1
		.amdhsa_reserve_flat_scratch 0
		.amdhsa_float_round_mode_32 0
		.amdhsa_float_round_mode_16_64 0
		.amdhsa_float_denorm_mode_32 3
		.amdhsa_float_denorm_mode_16_64 3
		.amdhsa_dx10_clamp 1
		.amdhsa_ieee_mode 1
		.amdhsa_fp16_overflow 0
		.amdhsa_tg_split 0
		.amdhsa_exception_fp_ieee_invalid_op 0
		.amdhsa_exception_fp_denorm_src 0
		.amdhsa_exception_fp_ieee_div_zero 0
		.amdhsa_exception_fp_ieee_overflow 0
		.amdhsa_exception_fp_ieee_underflow 0
		.amdhsa_exception_fp_ieee_inexact 0
		.amdhsa_exception_int_div_zero 0
	.end_amdhsa_kernel
	.section	.text._ZL22rocblas_geam_1D_deviceILi256EfPKPKfPKPfEvmT0_T1_llS7_S8_llT2_lli,"axG",@progbits,_ZL22rocblas_geam_1D_deviceILi256EfPKPKfPKPfEvmT0_T1_llS7_S8_llT2_lli,comdat
.Lfunc_end41:
	.size	_ZL22rocblas_geam_1D_deviceILi256EfPKPKfPKPfEvmT0_T1_llS7_S8_llT2_lli, .Lfunc_end41-_ZL22rocblas_geam_1D_deviceILi256EfPKPKfPKPfEvmT0_T1_llS7_S8_llT2_lli
                                        ; -- End function
	.section	.AMDGPU.csdata,"",@progbits
; Kernel info:
; codeLenInByte = 416
; NumSgprs: 28
; NumVgprs: 6
; NumAgprs: 0
; TotalNumVgprs: 6
; ScratchSize: 0
; MemoryBound: 0
; FloatMode: 240
; IeeeMode: 1
; LDSByteSize: 0 bytes/workgroup (compile time only)
; SGPRBlocks: 3
; VGPRBlocks: 0
; NumSGPRsForWavesPerEU: 28
; NumVGPRsForWavesPerEU: 6
; AccumOffset: 8
; Occupancy: 8
; WaveLimiterHint : 1
; COMPUTE_PGM_RSRC2:SCRATCH_EN: 0
; COMPUTE_PGM_RSRC2:USER_SGPR: 6
; COMPUTE_PGM_RSRC2:TRAP_HANDLER: 0
; COMPUTE_PGM_RSRC2:TGID_X_EN: 1
; COMPUTE_PGM_RSRC2:TGID_Y_EN: 0
; COMPUTE_PGM_RSRC2:TGID_Z_EN: 1
; COMPUTE_PGM_RSRC2:TIDIG_COMP_CNT: 0
; COMPUTE_PGM_RSRC3_GFX90A:ACCUM_OFFSET: 1
; COMPUTE_PGM_RSRC3_GFX90A:TG_SPLIT: 0
	.section	.text._ZL22rocblas_geam_1D_deviceILi256EPKfPKS1_PKPfEvmT0_T1_llS7_S8_llT2_lli,"axG",@progbits,_ZL22rocblas_geam_1D_deviceILi256EPKfPKS1_PKPfEvmT0_T1_llS7_S8_llT2_lli,comdat
	.globl	_ZL22rocblas_geam_1D_deviceILi256EPKfPKS1_PKPfEvmT0_T1_llS7_S8_llT2_lli ; -- Begin function _ZL22rocblas_geam_1D_deviceILi256EPKfPKS1_PKPfEvmT0_T1_llS7_S8_llT2_lli
	.p2align	8
	.type	_ZL22rocblas_geam_1D_deviceILi256EPKfPKS1_PKPfEvmT0_T1_llS7_S8_llT2_lli,@function
_ZL22rocblas_geam_1D_deviceILi256EPKfPKS1_PKPfEvmT0_T1_llS7_S8_llT2_lli: ; @_ZL22rocblas_geam_1D_deviceILi256EPKfPKS1_PKPfEvmT0_T1_llS7_S8_llT2_lli
; %bb.0:
	s_load_dword s0, s[4:5], 0x74
	s_load_dwordx8 s[8:15], s[4:5], 0x0
	v_mov_b32_e32 v1, 0
	v_mov_b32_e32 v2, s6
	s_waitcnt lgkmcnt(0)
	s_and_b32 s0, s0, 0xffff
	v_mad_u64_u32 v[2:3], s[0:1], s0, v2, v[0:1]
	v_cmp_gt_u64_e32 vcc, s[8:9], v[2:3]
	s_and_saveexec_b64 s[0:1], vcc
	s_cbranch_execz .LBB42_12
; %bb.1:
	s_load_dwordx4 s[16:19], s[4:5], 0x28
	s_load_dwordx4 s[0:3], s[4:5], 0x48
	s_load_dword s22, s[10:11], 0x0
	s_mov_b32 s20, s7
	s_mov_b32 s21, 0
	s_waitcnt lgkmcnt(0)
	s_load_dword s23, s[16:17], 0x0
	s_lshl_b64 s[10:11], s[20:21], 3
	s_add_u32 s0, s0, s10
	s_addc_u32 s1, s1, s11
	s_load_dwordx2 s[0:1], s[0:1], 0x0
	v_cmp_eq_f32_e64 s[8:9], s22, 0
	s_waitcnt lgkmcnt(0)
	v_cmp_eq_f32_e64 s[20:21], s23, 0
	s_and_b64 s[6:7], s[8:9], s[20:21]
	s_and_b64 vcc, exec, s[6:7]
	s_cbranch_vccnz .LBB42_11
; %bb.2:
	v_cmp_neq_f32_e64 s[6:7], s22, 0
	s_mov_b64 s[16:17], 0
	s_and_b64 vcc, exec, s[8:9]
	s_mov_b64 s[8:9], 0
	s_cbranch_vccnz .LBB42_4
; %bb.3:
	s_add_u32 s8, s12, s10
	s_addc_u32 s9, s13, s11
	s_load_dwordx2 s[8:9], s[8:9], 0x0
	s_lshl_b64 s[12:13], s[14:15], 2
	s_waitcnt lgkmcnt(0)
	s_add_u32 s8, s8, s12
	s_addc_u32 s9, s9, s13
.LBB42_4:
	v_cmp_neq_f32_e64 s[12:13], s23, 0
	s_and_b64 vcc, exec, s[20:21]
	s_cbranch_vccnz .LBB42_6
; %bb.5:
	s_add_u32 s10, s18, s10
	s_load_dwordx2 s[4:5], s[4:5], 0x38
	s_addc_u32 s11, s19, s11
	s_load_dwordx2 s[10:11], s[10:11], 0x0
	s_waitcnt lgkmcnt(0)
	s_lshl_b64 s[4:5], s[4:5], 2
	s_add_u32 s16, s10, s4
	s_addc_u32 s17, s11, s5
.LBB42_6:
	s_andn2_b64 vcc, exec, s[12:13]
	v_mov_b32_e32 v0, 0
	v_mov_b32_e32 v1, 0
	s_cbranch_vccnz .LBB42_8
; %bb.7:
	v_lshlrev_b64 v[4:5], 2, v[2:3]
	v_mov_b32_e32 v1, s17
	v_add_co_u32_e32 v4, vcc, s16, v4
	v_addc_co_u32_e32 v5, vcc, v1, v5, vcc
	flat_load_dword v1, v[4:5]
	s_waitcnt vmcnt(0) lgkmcnt(0)
	v_mul_f32_e32 v1, s23, v1
.LBB42_8:
	s_andn2_b64 vcc, exec, s[6:7]
	s_cbranch_vccnz .LBB42_10
; %bb.9:
	v_lshlrev_b64 v[4:5], 2, v[2:3]
	v_mov_b32_e32 v0, s9
	v_add_co_u32_e32 v4, vcc, s8, v4
	v_addc_co_u32_e32 v5, vcc, v0, v5, vcc
	flat_load_dword v0, v[4:5]
	s_waitcnt vmcnt(0) lgkmcnt(0)
	v_mul_f32_e32 v0, s22, v0
.LBB42_10:
	v_add_f32_e32 v1, v1, v0
.LBB42_11:
	s_lshl_b64 s[2:3], s[2:3], 2
	s_add_u32 s0, s0, s2
	s_addc_u32 s1, s1, s3
	v_lshlrev_b64 v[2:3], 2, v[2:3]
	v_mov_b32_e32 v0, s1
	v_add_co_u32_e32 v2, vcc, s0, v2
	v_addc_co_u32_e32 v3, vcc, v0, v3, vcc
	global_store_dword v[2:3], v1, off
.LBB42_12:
	s_endpgm
	.section	.rodata,"a",@progbits
	.p2align	6, 0x0
	.amdhsa_kernel _ZL22rocblas_geam_1D_deviceILi256EPKfPKS1_PKPfEvmT0_T1_llS7_S8_llT2_lli
		.amdhsa_group_segment_fixed_size 0
		.amdhsa_private_segment_fixed_size 0
		.amdhsa_kernarg_size 360
		.amdhsa_user_sgpr_count 6
		.amdhsa_user_sgpr_private_segment_buffer 1
		.amdhsa_user_sgpr_dispatch_ptr 0
		.amdhsa_user_sgpr_queue_ptr 0
		.amdhsa_user_sgpr_kernarg_segment_ptr 1
		.amdhsa_user_sgpr_dispatch_id 0
		.amdhsa_user_sgpr_flat_scratch_init 0
		.amdhsa_user_sgpr_kernarg_preload_length 0
		.amdhsa_user_sgpr_kernarg_preload_offset 0
		.amdhsa_user_sgpr_private_segment_size 0
		.amdhsa_uses_dynamic_stack 0
		.amdhsa_system_sgpr_private_segment_wavefront_offset 0
		.amdhsa_system_sgpr_workgroup_id_x 1
		.amdhsa_system_sgpr_workgroup_id_y 0
		.amdhsa_system_sgpr_workgroup_id_z 1
		.amdhsa_system_sgpr_workgroup_info 0
		.amdhsa_system_vgpr_workitem_id 0
		.amdhsa_next_free_vgpr 6
		.amdhsa_next_free_sgpr 24
		.amdhsa_accum_offset 8
		.amdhsa_reserve_vcc 1
		.amdhsa_reserve_flat_scratch 0
		.amdhsa_float_round_mode_32 0
		.amdhsa_float_round_mode_16_64 0
		.amdhsa_float_denorm_mode_32 3
		.amdhsa_float_denorm_mode_16_64 3
		.amdhsa_dx10_clamp 1
		.amdhsa_ieee_mode 1
		.amdhsa_fp16_overflow 0
		.amdhsa_tg_split 0
		.amdhsa_exception_fp_ieee_invalid_op 0
		.amdhsa_exception_fp_denorm_src 0
		.amdhsa_exception_fp_ieee_div_zero 0
		.amdhsa_exception_fp_ieee_overflow 0
		.amdhsa_exception_fp_ieee_underflow 0
		.amdhsa_exception_fp_ieee_inexact 0
		.amdhsa_exception_int_div_zero 0
	.end_amdhsa_kernel
	.section	.text._ZL22rocblas_geam_1D_deviceILi256EPKfPKS1_PKPfEvmT0_T1_llS7_S8_llT2_lli,"axG",@progbits,_ZL22rocblas_geam_1D_deviceILi256EPKfPKS1_PKPfEvmT0_T1_llS7_S8_llT2_lli,comdat
.Lfunc_end42:
	.size	_ZL22rocblas_geam_1D_deviceILi256EPKfPKS1_PKPfEvmT0_T1_llS7_S8_llT2_lli, .Lfunc_end42-_ZL22rocblas_geam_1D_deviceILi256EPKfPKS1_PKPfEvmT0_T1_llS7_S8_llT2_lli
                                        ; -- End function
	.section	.AMDGPU.csdata,"",@progbits
; Kernel info:
; codeLenInByte = 408
; NumSgprs: 28
; NumVgprs: 6
; NumAgprs: 0
; TotalNumVgprs: 6
; ScratchSize: 0
; MemoryBound: 0
; FloatMode: 240
; IeeeMode: 1
; LDSByteSize: 0 bytes/workgroup (compile time only)
; SGPRBlocks: 3
; VGPRBlocks: 0
; NumSGPRsForWavesPerEU: 28
; NumVGPRsForWavesPerEU: 6
; AccumOffset: 8
; Occupancy: 8
; WaveLimiterHint : 1
; COMPUTE_PGM_RSRC2:SCRATCH_EN: 0
; COMPUTE_PGM_RSRC2:USER_SGPR: 6
; COMPUTE_PGM_RSRC2:TRAP_HANDLER: 0
; COMPUTE_PGM_RSRC2:TGID_X_EN: 1
; COMPUTE_PGM_RSRC2:TGID_Y_EN: 0
; COMPUTE_PGM_RSRC2:TGID_Z_EN: 1
; COMPUTE_PGM_RSRC2:TIDIG_COMP_CNT: 0
; COMPUTE_PGM_RSRC3_GFX90A:ACCUM_OFFSET: 1
; COMPUTE_PGM_RSRC3_GFX90A:TG_SPLIT: 0
	.section	.text._ZL19rocblas_geam_deviceILi16ELi16EfPKPKfPKPfEv18rocblas_operation_S7_iiT1_T2_lllS8_S9_lllT3_llli,"axG",@progbits,_ZL19rocblas_geam_deviceILi16ELi16EfPKPKfPKPfEv18rocblas_operation_S7_iiT1_T2_lllS8_S9_lllT3_llli,comdat
	.globl	_ZL19rocblas_geam_deviceILi16ELi16EfPKPKfPKPfEv18rocblas_operation_S7_iiT1_T2_lllS8_S9_lllT3_llli ; -- Begin function _ZL19rocblas_geam_deviceILi16ELi16EfPKPKfPKPfEv18rocblas_operation_S7_iiT1_T2_lllS8_S9_lllT3_llli
	.p2align	8
	.type	_ZL19rocblas_geam_deviceILi16ELi16EfPKPKfPKPfEv18rocblas_operation_S7_iiT1_T2_lllS8_S9_lllT3_llli,@function
_ZL19rocblas_geam_deviceILi16ELi16EfPKPKfPKPfEv18rocblas_operation_S7_iiT1_T2_lllS8_S9_lllT3_llli: ; @_ZL19rocblas_geam_deviceILi16ELi16EfPKPKfPKPfEv18rocblas_operation_S7_iiT1_T2_lllS8_S9_lllT3_llli
; %bb.0:
	s_load_dwordx4 s[8:11], s[4:5], 0x0
	s_mov_b32 s12, s7
	v_and_b32_e32 v3, 0x3ff, v0
	v_bfe_u32 v0, v0, 10, 10
	s_waitcnt lgkmcnt(0)
	s_add_i32 s0, s10, -1
	s_ashr_i32 s1, s0, 31
	s_lshr_b32 s1, s1, 28
	s_add_i32 s0, s0, s1
	s_ashr_i32 s0, s0, 4
	s_add_i32 s1, s0, 1
	v_cvt_f32_u32_e32 v1, s1
	s_not_b32 s0, s0
	v_rcp_iflag_f32_e32 v1, v1
	v_mul_f32_e32 v1, 0x4f7ffffe, v1
	v_cvt_u32_f32_e32 v1, v1
	v_readfirstlane_b32 s2, v1
	s_mul_i32 s0, s0, s2
	s_mul_hi_u32 s0, s2, s0
	s_add_i32 s2, s2, s0
	s_mul_hi_u32 s0, s6, s2
	s_mul_i32 s2, s0, s1
	s_sub_i32 s2, s6, s2
	s_add_i32 s3, s0, 1
	s_sub_i32 s7, s2, s1
	s_cmp_ge_u32 s2, s1
	s_cselect_b32 s0, s3, s0
	s_cselect_b32 s2, s7, s2
	s_add_i32 s3, s0, 1
	s_cmp_ge_u32 s2, s1
	s_cselect_b32 s0, s3, s0
	s_mul_i32 s1, s0, s1
	v_lshl_add_u32 v2, s0, 4, v0
	s_sub_i32 s0, s6, s1
	v_lshl_add_u32 v0, s0, 4, v3
	v_cmp_gt_i32_e32 vcc, s10, v0
	v_cmp_gt_i32_e64 s[0:1], s11, v2
	s_and_b64 s[0:1], vcc, s[0:1]
	s_and_saveexec_b64 s[2:3], s[0:1]
	s_cbranch_execz .LBB43_13
; %bb.1:
	s_load_dword s24, s[4:5], 0x10
	s_load_dwordx4 s[0:3], s[4:5], 0x18
	s_load_dwordx2 s[6:7], s[4:5], 0x28
	s_mov_b32 s13, 0
	s_waitcnt lgkmcnt(0)
	v_cmp_neq_f32_e64 s[10:11], s24, 0
	s_and_b64 vcc, exec, s[10:11]
	s_cbranch_vccnz .LBB43_3
; %bb.2:
	s_mov_b64 s[14:15], 0
	s_cbranch_execz .LBB43_4
	s_branch .LBB43_5
.LBB43_3:
                                        ; implicit-def: $sgpr14_sgpr15
.LBB43_4:
	s_lshl_b64 s[14:15], s[12:13], 3
	s_add_u32 s0, s0, s14
	s_addc_u32 s1, s1, s15
	s_load_dwordx2 s[0:1], s[0:1], 0x0
	s_lshl_b64 s[2:3], s[2:3], 2
	s_waitcnt lgkmcnt(0)
	s_add_u32 s14, s0, s2
	s_addc_u32 s15, s1, s3
.LBB43_5:
	s_load_dword s25, s[4:5], 0x38
	s_load_dwordx4 s[0:3], s[4:5], 0x40
	s_load_dwordx2 s[16:17], s[4:5], 0x50
	s_waitcnt lgkmcnt(0)
	v_cmp_eq_f32_e64 s[18:19], s25, 0
	v_cmp_neq_f32_e64 s[22:23], s25, 0
	s_and_b64 vcc, exec, s[18:19]
	s_cbranch_vccnz .LBB43_7
; %bb.6:
	s_lshl_b64 s[18:19], s[12:13], 3
	s_add_u32 s0, s0, s18
	s_addc_u32 s1, s1, s19
	s_load_dwordx2 s[0:1], s[0:1], 0x0
	s_lshl_b64 s[2:3], s[2:3], 2
	s_waitcnt lgkmcnt(0)
	s_add_u32 s20, s0, s2
	s_addc_u32 s21, s1, s3
	s_branch .LBB43_8
.LBB43_7:
	s_mov_b64 s[20:21], 0
.LBB43_8:
	s_load_dwordx4 s[0:3], s[4:5], 0x60
	s_load_dwordx2 s[18:19], s[4:5], 0x70
	s_lshl_b64 s[4:5], s[12:13], 3
	v_ashrrev_i32_e32 v1, 31, v0
	v_ashrrev_i32_e32 v3, 31, v2
	s_waitcnt lgkmcnt(0)
	s_add_u32 s0, s0, s4
	s_addc_u32 s1, s1, s5
	s_load_dwordx2 s[0:1], s[0:1], 0x0
	s_andn2_b64 vcc, exec, s[10:11]
	v_mov_b32_e32 v5, 0
	v_mov_b32_e32 v4, 0
	s_cbranch_vccnz .LBB43_10
; %bb.9:
	s_cmpk_eq_i32 s8, 0x6f
	s_cselect_b64 vcc, -1, 0
	v_cndmask_b32_e32 v4, v1, v3, vcc
	v_cndmask_b32_e32 v8, v0, v2, vcc
	;; [unrolled: 1-line block ×4, first 2 shown]
	v_mad_u64_u32 v[6:7], s[4:5], v8, s6, v[6:7]
	v_mul_lo_u32 v8, v8, s7
	v_mul_lo_u32 v4, v4, s6
	v_add3_u32 v7, v4, v7, v8
	v_lshlrev_b64 v[6:7], 2, v[6:7]
	v_mov_b32_e32 v4, s15
	v_add_co_u32_e32 v6, vcc, s14, v6
	v_addc_co_u32_e32 v7, vcc, v4, v7, vcc
	flat_load_dword v4, v[6:7]
.LBB43_10:
	s_andn2_b64 vcc, exec, s[22:23]
	s_cbranch_vccnz .LBB43_12
; %bb.11:
	s_cmpk_eq_i32 s9, 0x6f
	s_cselect_b64 vcc, -1, 0
	v_cndmask_b32_e32 v5, v1, v3, vcc
	v_cndmask_b32_e32 v8, v0, v2, vcc
	;; [unrolled: 1-line block ×4, first 2 shown]
	v_mad_u64_u32 v[6:7], s[4:5], v8, s16, v[6:7]
	v_mul_lo_u32 v8, v8, s17
	v_mul_lo_u32 v5, v5, s16
	v_add3_u32 v7, v5, v7, v8
	v_lshlrev_b64 v[6:7], 2, v[6:7]
	v_mov_b32_e32 v5, s21
	v_add_co_u32_e32 v6, vcc, s20, v6
	v_addc_co_u32_e32 v7, vcc, v5, v7, vcc
	flat_load_dword v5, v[6:7]
.LBB43_12:
	s_lshl_b64 s[2:3], s[2:3], 2
	s_waitcnt lgkmcnt(0)
	s_add_u32 s2, s0, s2
	s_addc_u32 s3, s1, s3
	v_mul_lo_u32 v6, v3, s18
	v_mul_lo_u32 v7, v2, s19
	v_mad_u64_u32 v[2:3], s[0:1], v2, s18, 0
	v_add3_u32 v3, v3, v7, v6
	s_waitcnt vmcnt(0)
	v_mul_f32_e32 v5, s25, v5
	v_lshlrev_b64 v[2:3], 2, v[2:3]
	v_fmac_f32_e32 v5, s24, v4
	v_mov_b32_e32 v4, s3
	v_add_co_u32_e32 v2, vcc, s2, v2
	v_addc_co_u32_e32 v3, vcc, v4, v3, vcc
	v_lshlrev_b64 v[0:1], 2, v[0:1]
	v_add_co_u32_e32 v0, vcc, v2, v0
	v_addc_co_u32_e32 v1, vcc, v3, v1, vcc
	global_store_dword v[0:1], v5, off
.LBB43_13:
	s_endpgm
	.section	.rodata,"a",@progbits
	.p2align	6, 0x0
	.amdhsa_kernel _ZL19rocblas_geam_deviceILi16ELi16EfPKPKfPKPfEv18rocblas_operation_S7_iiT1_T2_lllS8_S9_lllT3_llli
		.amdhsa_group_segment_fixed_size 0
		.amdhsa_private_segment_fixed_size 0
		.amdhsa_kernarg_size 132
		.amdhsa_user_sgpr_count 6
		.amdhsa_user_sgpr_private_segment_buffer 1
		.amdhsa_user_sgpr_dispatch_ptr 0
		.amdhsa_user_sgpr_queue_ptr 0
		.amdhsa_user_sgpr_kernarg_segment_ptr 1
		.amdhsa_user_sgpr_dispatch_id 0
		.amdhsa_user_sgpr_flat_scratch_init 0
		.amdhsa_user_sgpr_kernarg_preload_length 0
		.amdhsa_user_sgpr_kernarg_preload_offset 0
		.amdhsa_user_sgpr_private_segment_size 0
		.amdhsa_uses_dynamic_stack 0
		.amdhsa_system_sgpr_private_segment_wavefront_offset 0
		.amdhsa_system_sgpr_workgroup_id_x 1
		.amdhsa_system_sgpr_workgroup_id_y 0
		.amdhsa_system_sgpr_workgroup_id_z 1
		.amdhsa_system_sgpr_workgroup_info 0
		.amdhsa_system_vgpr_workitem_id 1
		.amdhsa_next_free_vgpr 9
		.amdhsa_next_free_sgpr 26
		.amdhsa_accum_offset 12
		.amdhsa_reserve_vcc 1
		.amdhsa_reserve_flat_scratch 0
		.amdhsa_float_round_mode_32 0
		.amdhsa_float_round_mode_16_64 0
		.amdhsa_float_denorm_mode_32 3
		.amdhsa_float_denorm_mode_16_64 3
		.amdhsa_dx10_clamp 1
		.amdhsa_ieee_mode 1
		.amdhsa_fp16_overflow 0
		.amdhsa_tg_split 0
		.amdhsa_exception_fp_ieee_invalid_op 0
		.amdhsa_exception_fp_denorm_src 0
		.amdhsa_exception_fp_ieee_div_zero 0
		.amdhsa_exception_fp_ieee_overflow 0
		.amdhsa_exception_fp_ieee_underflow 0
		.amdhsa_exception_fp_ieee_inexact 0
		.amdhsa_exception_int_div_zero 0
	.end_amdhsa_kernel
	.section	.text._ZL19rocblas_geam_deviceILi16ELi16EfPKPKfPKPfEv18rocblas_operation_S7_iiT1_T2_lllS8_S9_lllT3_llli,"axG",@progbits,_ZL19rocblas_geam_deviceILi16ELi16EfPKPKfPKPfEv18rocblas_operation_S7_iiT1_T2_lllS8_S9_lllT3_llli,comdat
.Lfunc_end43:
	.size	_ZL19rocblas_geam_deviceILi16ELi16EfPKPKfPKPfEv18rocblas_operation_S7_iiT1_T2_lllS8_S9_lllT3_llli, .Lfunc_end43-_ZL19rocblas_geam_deviceILi16ELi16EfPKPKfPKPfEv18rocblas_operation_S7_iiT1_T2_lllS8_S9_lllT3_llli
                                        ; -- End function
	.section	.AMDGPU.csdata,"",@progbits
; Kernel info:
; codeLenInByte = 728
; NumSgprs: 30
; NumVgprs: 9
; NumAgprs: 0
; TotalNumVgprs: 9
; ScratchSize: 0
; MemoryBound: 0
; FloatMode: 240
; IeeeMode: 1
; LDSByteSize: 0 bytes/workgroup (compile time only)
; SGPRBlocks: 3
; VGPRBlocks: 1
; NumSGPRsForWavesPerEU: 30
; NumVGPRsForWavesPerEU: 9
; AccumOffset: 12
; Occupancy: 8
; WaveLimiterHint : 1
; COMPUTE_PGM_RSRC2:SCRATCH_EN: 0
; COMPUTE_PGM_RSRC2:USER_SGPR: 6
; COMPUTE_PGM_RSRC2:TRAP_HANDLER: 0
; COMPUTE_PGM_RSRC2:TGID_X_EN: 1
; COMPUTE_PGM_RSRC2:TGID_Y_EN: 0
; COMPUTE_PGM_RSRC2:TGID_Z_EN: 1
; COMPUTE_PGM_RSRC2:TIDIG_COMP_CNT: 1
; COMPUTE_PGM_RSRC3_GFX90A:ACCUM_OFFSET: 2
; COMPUTE_PGM_RSRC3_GFX90A:TG_SPLIT: 0
	.section	.text._ZL19rocblas_geam_deviceILi16ELi16EPKfPKS1_PKPfEv18rocblas_operation_S7_iiT1_T2_lllS8_S9_lllT3_llli,"axG",@progbits,_ZL19rocblas_geam_deviceILi16ELi16EPKfPKS1_PKPfEv18rocblas_operation_S7_iiT1_T2_lllS8_S9_lllT3_llli,comdat
	.globl	_ZL19rocblas_geam_deviceILi16ELi16EPKfPKS1_PKPfEv18rocblas_operation_S7_iiT1_T2_lllS8_S9_lllT3_llli ; -- Begin function _ZL19rocblas_geam_deviceILi16ELi16EPKfPKS1_PKPfEv18rocblas_operation_S7_iiT1_T2_lllS8_S9_lllT3_llli
	.p2align	8
	.type	_ZL19rocblas_geam_deviceILi16ELi16EPKfPKS1_PKPfEv18rocblas_operation_S7_iiT1_T2_lllS8_S9_lllT3_llli,@function
_ZL19rocblas_geam_deviceILi16ELi16EPKfPKS1_PKPfEv18rocblas_operation_S7_iiT1_T2_lllS8_S9_lllT3_llli: ; @_ZL19rocblas_geam_deviceILi16ELi16EPKfPKS1_PKPfEv18rocblas_operation_S7_iiT1_T2_lllS8_S9_lllT3_llli
; %bb.0:
	s_load_dwordx4 s[24:27], s[4:5], 0x0
	s_mov_b32 s28, s7
	v_and_b32_e32 v3, 0x3ff, v0
	v_bfe_u32 v0, v0, 10, 10
	s_waitcnt lgkmcnt(0)
	s_add_i32 s0, s26, -1
	s_ashr_i32 s1, s0, 31
	s_lshr_b32 s1, s1, 28
	s_add_i32 s0, s0, s1
	s_ashr_i32 s0, s0, 4
	s_add_i32 s1, s0, 1
	v_cvt_f32_u32_e32 v1, s1
	s_not_b32 s0, s0
	v_rcp_iflag_f32_e32 v1, v1
	v_mul_f32_e32 v1, 0x4f7ffffe, v1
	v_cvt_u32_f32_e32 v1, v1
	v_readfirstlane_b32 s2, v1
	s_mul_i32 s0, s0, s2
	s_mul_hi_u32 s0, s2, s0
	s_add_i32 s2, s2, s0
	s_mul_hi_u32 s0, s6, s2
	s_mul_i32 s2, s0, s1
	s_sub_i32 s2, s6, s2
	s_add_i32 s3, s0, 1
	s_sub_i32 s7, s2, s1
	s_cmp_ge_u32 s2, s1
	s_cselect_b32 s0, s3, s0
	s_cselect_b32 s2, s7, s2
	s_add_i32 s3, s0, 1
	s_cmp_ge_u32 s2, s1
	s_cselect_b32 s0, s3, s0
	s_mul_i32 s1, s0, s1
	v_lshl_add_u32 v2, s0, 4, v0
	s_sub_i32 s0, s6, s1
	v_lshl_add_u32 v0, s0, 4, v3
	v_cmp_gt_i32_e32 vcc, s26, v0
	v_cmp_gt_i32_e64 s[0:1], s27, v2
	s_and_b64 s[0:1], vcc, s[0:1]
	s_and_saveexec_b64 s[2:3], s[0:1]
	s_cbranch_execz .LBB44_13
; %bb.1:
	s_load_dwordx8 s[16:23], s[4:5], 0x10
	s_mov_b32 s29, 0
	s_waitcnt lgkmcnt(0)
	s_load_dword s26, s[16:17], 0x0
	s_load_dwordx8 s[8:15], s[4:5], 0x38
	s_waitcnt lgkmcnt(0)
	v_cmp_neq_f32_e64 s[6:7], s26, 0
	s_and_b64 vcc, exec, s[6:7]
	s_cbranch_vccnz .LBB44_3
; %bb.2:
	s_mov_b64 s[16:17], 0
	s_load_dword s27, s[8:9], 0x0
	s_cbranch_execz .LBB44_4
	s_branch .LBB44_5
.LBB44_3:
                                        ; implicit-def: $sgpr16_sgpr17
	s_load_dword s27, s[8:9], 0x0
.LBB44_4:
	s_lshl_b64 s[0:1], s[28:29], 3
	s_add_u32 s0, s18, s0
	s_addc_u32 s1, s19, s1
	s_load_dwordx2 s[0:1], s[0:1], 0x0
	s_lshl_b64 s[2:3], s[20:21], 2
	s_waitcnt lgkmcnt(0)
	s_add_u32 s16, s0, s2
	s_addc_u32 s17, s1, s3
.LBB44_5:
	s_waitcnt lgkmcnt(0)
	v_cmp_eq_f32_e64 s[0:1], s27, 0
	v_cmp_neq_f32_e64 s[18:19], s27, 0
	s_and_b64 vcc, exec, s[0:1]
	s_cbranch_vccnz .LBB44_7
; %bb.6:
	s_lshl_b64 s[0:1], s[28:29], 3
	s_add_u32 s0, s10, s0
	s_addc_u32 s1, s11, s1
	s_load_dwordx2 s[0:1], s[0:1], 0x0
	s_lshl_b64 s[2:3], s[12:13], 2
	s_waitcnt lgkmcnt(0)
	s_add_u32 s10, s0, s2
	s_addc_u32 s11, s1, s3
	s_branch .LBB44_8
.LBB44_7:
	s_mov_b64 s[10:11], 0
.LBB44_8:
	s_load_dwordx4 s[0:3], s[4:5], 0x60
	s_load_dwordx2 s[8:9], s[4:5], 0x70
	s_lshl_b64 s[4:5], s[28:29], 3
	v_ashrrev_i32_e32 v1, 31, v0
	v_ashrrev_i32_e32 v3, 31, v2
	s_waitcnt lgkmcnt(0)
	s_add_u32 s0, s0, s4
	s_addc_u32 s1, s1, s5
	s_load_dwordx2 s[0:1], s[0:1], 0x0
	s_andn2_b64 vcc, exec, s[6:7]
	v_mov_b32_e32 v5, 0
	v_mov_b32_e32 v4, 0
	s_cbranch_vccnz .LBB44_10
; %bb.9:
	s_cmpk_eq_i32 s24, 0x6f
	s_cselect_b64 vcc, -1, 0
	v_cndmask_b32_e32 v4, v1, v3, vcc
	v_cndmask_b32_e32 v8, v0, v2, vcc
	;; [unrolled: 1-line block ×4, first 2 shown]
	v_mad_u64_u32 v[6:7], s[4:5], v8, s22, v[6:7]
	v_mul_lo_u32 v8, v8, s23
	v_mul_lo_u32 v4, v4, s22
	v_add3_u32 v7, v4, v7, v8
	v_lshlrev_b64 v[6:7], 2, v[6:7]
	v_mov_b32_e32 v4, s17
	v_add_co_u32_e32 v6, vcc, s16, v6
	v_addc_co_u32_e32 v7, vcc, v4, v7, vcc
	flat_load_dword v4, v[6:7]
.LBB44_10:
	s_andn2_b64 vcc, exec, s[18:19]
	s_cbranch_vccnz .LBB44_12
; %bb.11:
	s_cmpk_eq_i32 s25, 0x6f
	s_cselect_b64 vcc, -1, 0
	v_cndmask_b32_e32 v5, v1, v3, vcc
	v_cndmask_b32_e32 v8, v0, v2, vcc
	;; [unrolled: 1-line block ×4, first 2 shown]
	v_mad_u64_u32 v[6:7], s[4:5], v8, s14, v[6:7]
	v_mul_lo_u32 v8, v8, s15
	v_mul_lo_u32 v5, v5, s14
	v_add3_u32 v7, v5, v7, v8
	v_lshlrev_b64 v[6:7], 2, v[6:7]
	v_mov_b32_e32 v5, s11
	v_add_co_u32_e32 v6, vcc, s10, v6
	v_addc_co_u32_e32 v7, vcc, v5, v7, vcc
	flat_load_dword v5, v[6:7]
.LBB44_12:
	s_lshl_b64 s[2:3], s[2:3], 2
	s_waitcnt lgkmcnt(0)
	s_add_u32 s2, s0, s2
	s_addc_u32 s3, s1, s3
	v_mul_lo_u32 v6, v3, s8
	v_mul_lo_u32 v7, v2, s9
	v_mad_u64_u32 v[2:3], s[0:1], v2, s8, 0
	v_add3_u32 v3, v3, v7, v6
	s_waitcnt vmcnt(0)
	v_mul_f32_e32 v5, s27, v5
	v_lshlrev_b64 v[2:3], 2, v[2:3]
	v_fmac_f32_e32 v5, s26, v4
	v_mov_b32_e32 v4, s3
	v_add_co_u32_e32 v2, vcc, s2, v2
	v_addc_co_u32_e32 v3, vcc, v4, v3, vcc
	v_lshlrev_b64 v[0:1], 2, v[0:1]
	v_add_co_u32_e32 v0, vcc, v2, v0
	v_addc_co_u32_e32 v1, vcc, v3, v1, vcc
	global_store_dword v[0:1], v5, off
.LBB44_13:
	s_endpgm
	.section	.rodata,"a",@progbits
	.p2align	6, 0x0
	.amdhsa_kernel _ZL19rocblas_geam_deviceILi16ELi16EPKfPKS1_PKPfEv18rocblas_operation_S7_iiT1_T2_lllS8_S9_lllT3_llli
		.amdhsa_group_segment_fixed_size 0
		.amdhsa_private_segment_fixed_size 0
		.amdhsa_kernarg_size 132
		.amdhsa_user_sgpr_count 6
		.amdhsa_user_sgpr_private_segment_buffer 1
		.amdhsa_user_sgpr_dispatch_ptr 0
		.amdhsa_user_sgpr_queue_ptr 0
		.amdhsa_user_sgpr_kernarg_segment_ptr 1
		.amdhsa_user_sgpr_dispatch_id 0
		.amdhsa_user_sgpr_flat_scratch_init 0
		.amdhsa_user_sgpr_kernarg_preload_length 0
		.amdhsa_user_sgpr_kernarg_preload_offset 0
		.amdhsa_user_sgpr_private_segment_size 0
		.amdhsa_uses_dynamic_stack 0
		.amdhsa_system_sgpr_private_segment_wavefront_offset 0
		.amdhsa_system_sgpr_workgroup_id_x 1
		.amdhsa_system_sgpr_workgroup_id_y 0
		.amdhsa_system_sgpr_workgroup_id_z 1
		.amdhsa_system_sgpr_workgroup_info 0
		.amdhsa_system_vgpr_workitem_id 1
		.amdhsa_next_free_vgpr 9
		.amdhsa_next_free_sgpr 30
		.amdhsa_accum_offset 12
		.amdhsa_reserve_vcc 1
		.amdhsa_reserve_flat_scratch 0
		.amdhsa_float_round_mode_32 0
		.amdhsa_float_round_mode_16_64 0
		.amdhsa_float_denorm_mode_32 3
		.amdhsa_float_denorm_mode_16_64 3
		.amdhsa_dx10_clamp 1
		.amdhsa_ieee_mode 1
		.amdhsa_fp16_overflow 0
		.amdhsa_tg_split 0
		.amdhsa_exception_fp_ieee_invalid_op 0
		.amdhsa_exception_fp_denorm_src 0
		.amdhsa_exception_fp_ieee_div_zero 0
		.amdhsa_exception_fp_ieee_overflow 0
		.amdhsa_exception_fp_ieee_underflow 0
		.amdhsa_exception_fp_ieee_inexact 0
		.amdhsa_exception_int_div_zero 0
	.end_amdhsa_kernel
	.section	.text._ZL19rocblas_geam_deviceILi16ELi16EPKfPKS1_PKPfEv18rocblas_operation_S7_iiT1_T2_lllS8_S9_lllT3_llli,"axG",@progbits,_ZL19rocblas_geam_deviceILi16ELi16EPKfPKS1_PKPfEv18rocblas_operation_S7_iiT1_T2_lllS8_S9_lllT3_llli,comdat
.Lfunc_end44:
	.size	_ZL19rocblas_geam_deviceILi16ELi16EPKfPKS1_PKPfEv18rocblas_operation_S7_iiT1_T2_lllS8_S9_lllT3_llli, .Lfunc_end44-_ZL19rocblas_geam_deviceILi16ELi16EPKfPKS1_PKPfEv18rocblas_operation_S7_iiT1_T2_lllS8_S9_lllT3_llli
                                        ; -- End function
	.section	.AMDGPU.csdata,"",@progbits
; Kernel info:
; codeLenInByte = 724
; NumSgprs: 34
; NumVgprs: 9
; NumAgprs: 0
; TotalNumVgprs: 9
; ScratchSize: 0
; MemoryBound: 0
; FloatMode: 240
; IeeeMode: 1
; LDSByteSize: 0 bytes/workgroup (compile time only)
; SGPRBlocks: 4
; VGPRBlocks: 1
; NumSGPRsForWavesPerEU: 34
; NumVGPRsForWavesPerEU: 9
; AccumOffset: 12
; Occupancy: 8
; WaveLimiterHint : 1
; COMPUTE_PGM_RSRC2:SCRATCH_EN: 0
; COMPUTE_PGM_RSRC2:USER_SGPR: 6
; COMPUTE_PGM_RSRC2:TRAP_HANDLER: 0
; COMPUTE_PGM_RSRC2:TGID_X_EN: 1
; COMPUTE_PGM_RSRC2:TGID_Y_EN: 0
; COMPUTE_PGM_RSRC2:TGID_Z_EN: 1
; COMPUTE_PGM_RSRC2:TIDIG_COMP_CNT: 1
; COMPUTE_PGM_RSRC3_GFX90A:ACCUM_OFFSET: 2
; COMPUTE_PGM_RSRC3_GFX90A:TG_SPLIT: 0
	.section	.text._ZL31rocblas_geam_zero_matrix_deviceILi16ELi16EPKPdEviiT1_llli,"axG",@progbits,_ZL31rocblas_geam_zero_matrix_deviceILi16ELi16EPKPdEviiT1_llli,comdat
	.globl	_ZL31rocblas_geam_zero_matrix_deviceILi16ELi16EPKPdEviiT1_llli ; -- Begin function _ZL31rocblas_geam_zero_matrix_deviceILi16ELi16EPKPdEviiT1_llli
	.p2align	8
	.type	_ZL31rocblas_geam_zero_matrix_deviceILi16ELi16EPKPdEviiT1_llli,@function
_ZL31rocblas_geam_zero_matrix_deviceILi16ELi16EPKPdEviiT1_llli: ; @_ZL31rocblas_geam_zero_matrix_deviceILi16ELi16EPKPdEviiT1_llli
; %bb.0:
	s_load_dwordx2 s[0:1], s[4:5], 0x0
	s_mov_b32 s2, s7
	v_and_b32_e32 v3, 0x3ff, v0
	v_bfe_u32 v0, v0, 10, 10
	s_waitcnt lgkmcnt(0)
	s_add_i32 s3, s0, -1
	s_ashr_i32 s7, s3, 31
	s_lshr_b32 s7, s7, 28
	s_add_i32 s3, s3, s7
	s_ashr_i32 s3, s3, 4
	s_add_i32 s7, s3, 1
	v_cvt_f32_u32_e32 v1, s7
	s_not_b32 s3, s3
	v_rcp_iflag_f32_e32 v1, v1
	v_mul_f32_e32 v1, 0x4f7ffffe, v1
	v_cvt_u32_f32_e32 v1, v1
	v_readfirstlane_b32 s8, v1
	s_mul_i32 s3, s3, s8
	s_mul_hi_u32 s3, s8, s3
	s_add_i32 s8, s8, s3
	s_mul_hi_u32 s3, s6, s8
	s_mul_i32 s8, s3, s7
	s_sub_i32 s8, s6, s8
	s_add_i32 s9, s3, 1
	s_sub_i32 s10, s8, s7
	s_cmp_ge_u32 s8, s7
	s_cselect_b32 s3, s9, s3
	s_cselect_b32 s8, s10, s8
	s_add_i32 s9, s3, 1
	s_cmp_ge_u32 s8, s7
	s_cselect_b32 s3, s9, s3
	s_mul_i32 s7, s3, s7
	v_lshl_add_u32 v2, s3, 4, v0
	s_sub_i32 s3, s6, s7
	v_lshl_add_u32 v0, s3, 4, v3
	v_cmp_gt_i32_e32 vcc, s0, v0
	v_cmp_gt_i32_e64 s[0:1], s1, v2
	s_and_b64 s[0:1], vcc, s[0:1]
	s_and_saveexec_b64 s[6:7], s[0:1]
	s_cbranch_execz .LBB45_2
; %bb.1:
	s_load_dwordx4 s[8:11], s[4:5], 0x8
	s_load_dwordx2 s[0:1], s[4:5], 0x18
	s_mov_b32 s3, 0
	s_lshl_b64 s[2:3], s[2:3], 3
	v_ashrrev_i32_e32 v3, 31, v2
	s_waitcnt lgkmcnt(0)
	s_add_u32 s2, s8, s2
	s_addc_u32 s3, s9, s3
	s_load_dwordx2 s[2:3], s[2:3], 0x0
	v_mul_lo_u32 v4, v2, s1
	v_mul_lo_u32 v5, v3, s0
	s_lshl_b64 s[4:5], s[10:11], 3
	v_mad_u64_u32 v[2:3], s[0:1], v2, s0, 0
	s_waitcnt lgkmcnt(0)
	s_add_u32 s2, s2, s4
	v_add3_u32 v3, v3, v4, v5
	s_addc_u32 s3, s3, s5
	v_lshlrev_b64 v[2:3], 3, v[2:3]
	v_ashrrev_i32_e32 v1, 31, v0
	v_mov_b32_e32 v4, s3
	v_add_co_u32_e32 v2, vcc, s2, v2
	v_addc_co_u32_e32 v3, vcc, v4, v3, vcc
	v_lshlrev_b64 v[0:1], 3, v[0:1]
	v_add_co_u32_e32 v0, vcc, v2, v0
	v_mov_b32_e32 v2, 0
	v_addc_co_u32_e32 v1, vcc, v3, v1, vcc
	v_mov_b32_e32 v3, v2
	global_store_dwordx2 v[0:1], v[2:3], off
.LBB45_2:
	s_endpgm
	.section	.rodata,"a",@progbits
	.p2align	6, 0x0
	.amdhsa_kernel _ZL31rocblas_geam_zero_matrix_deviceILi16ELi16EPKPdEviiT1_llli
		.amdhsa_group_segment_fixed_size 0
		.amdhsa_private_segment_fixed_size 0
		.amdhsa_kernarg_size 44
		.amdhsa_user_sgpr_count 6
		.amdhsa_user_sgpr_private_segment_buffer 1
		.amdhsa_user_sgpr_dispatch_ptr 0
		.amdhsa_user_sgpr_queue_ptr 0
		.amdhsa_user_sgpr_kernarg_segment_ptr 1
		.amdhsa_user_sgpr_dispatch_id 0
		.amdhsa_user_sgpr_flat_scratch_init 0
		.amdhsa_user_sgpr_kernarg_preload_length 0
		.amdhsa_user_sgpr_kernarg_preload_offset 0
		.amdhsa_user_sgpr_private_segment_size 0
		.amdhsa_uses_dynamic_stack 0
		.amdhsa_system_sgpr_private_segment_wavefront_offset 0
		.amdhsa_system_sgpr_workgroup_id_x 1
		.amdhsa_system_sgpr_workgroup_id_y 0
		.amdhsa_system_sgpr_workgroup_id_z 1
		.amdhsa_system_sgpr_workgroup_info 0
		.amdhsa_system_vgpr_workitem_id 1
		.amdhsa_next_free_vgpr 6
		.amdhsa_next_free_sgpr 12
		.amdhsa_accum_offset 8
		.amdhsa_reserve_vcc 1
		.amdhsa_reserve_flat_scratch 0
		.amdhsa_float_round_mode_32 0
		.amdhsa_float_round_mode_16_64 0
		.amdhsa_float_denorm_mode_32 3
		.amdhsa_float_denorm_mode_16_64 3
		.amdhsa_dx10_clamp 1
		.amdhsa_ieee_mode 1
		.amdhsa_fp16_overflow 0
		.amdhsa_tg_split 0
		.amdhsa_exception_fp_ieee_invalid_op 0
		.amdhsa_exception_fp_denorm_src 0
		.amdhsa_exception_fp_ieee_div_zero 0
		.amdhsa_exception_fp_ieee_overflow 0
		.amdhsa_exception_fp_ieee_underflow 0
		.amdhsa_exception_fp_ieee_inexact 0
		.amdhsa_exception_int_div_zero 0
	.end_amdhsa_kernel
	.section	.text._ZL31rocblas_geam_zero_matrix_deviceILi16ELi16EPKPdEviiT1_llli,"axG",@progbits,_ZL31rocblas_geam_zero_matrix_deviceILi16ELi16EPKPdEviiT1_llli,comdat
.Lfunc_end45:
	.size	_ZL31rocblas_geam_zero_matrix_deviceILi16ELi16EPKPdEviiT1_llli, .Lfunc_end45-_ZL31rocblas_geam_zero_matrix_deviceILi16ELi16EPKPdEviiT1_llli
                                        ; -- End function
	.section	.AMDGPU.csdata,"",@progbits
; Kernel info:
; codeLenInByte = 344
; NumSgprs: 16
; NumVgprs: 6
; NumAgprs: 0
; TotalNumVgprs: 6
; ScratchSize: 0
; MemoryBound: 0
; FloatMode: 240
; IeeeMode: 1
; LDSByteSize: 0 bytes/workgroup (compile time only)
; SGPRBlocks: 1
; VGPRBlocks: 0
; NumSGPRsForWavesPerEU: 16
; NumVGPRsForWavesPerEU: 6
; AccumOffset: 8
; Occupancy: 8
; WaveLimiterHint : 1
; COMPUTE_PGM_RSRC2:SCRATCH_EN: 0
; COMPUTE_PGM_RSRC2:USER_SGPR: 6
; COMPUTE_PGM_RSRC2:TRAP_HANDLER: 0
; COMPUTE_PGM_RSRC2:TGID_X_EN: 1
; COMPUTE_PGM_RSRC2:TGID_Y_EN: 0
; COMPUTE_PGM_RSRC2:TGID_Z_EN: 1
; COMPUTE_PGM_RSRC2:TIDIG_COMP_CNT: 1
; COMPUTE_PGM_RSRC3_GFX90A:ACCUM_OFFSET: 1
; COMPUTE_PGM_RSRC3_GFX90A:TG_SPLIT: 0
	.section	.text._ZL27rocblas_geam_inplace_deviceILi16ELi16EdPKPKdPKPdEv18rocblas_operation_iiT1_S8_T2_lllT3_llli,"axG",@progbits,_ZL27rocblas_geam_inplace_deviceILi16ELi16EdPKPKdPKPdEv18rocblas_operation_iiT1_S8_T2_lllT3_llli,comdat
	.globl	_ZL27rocblas_geam_inplace_deviceILi16ELi16EdPKPKdPKPdEv18rocblas_operation_iiT1_S8_T2_lllT3_llli ; -- Begin function _ZL27rocblas_geam_inplace_deviceILi16ELi16EdPKPKdPKPdEv18rocblas_operation_iiT1_S8_T2_lllT3_llli
	.p2align	8
	.type	_ZL27rocblas_geam_inplace_deviceILi16ELi16EdPKPKdPKPdEv18rocblas_operation_iiT1_S8_T2_lllT3_llli,@function
_ZL27rocblas_geam_inplace_deviceILi16ELi16EdPKPKdPKPdEv18rocblas_operation_iiT1_S8_T2_lllT3_llli: ; @_ZL27rocblas_geam_inplace_deviceILi16ELi16EdPKPKdPKPdEv18rocblas_operation_iiT1_S8_T2_lllT3_llli
; %bb.0:
	s_load_dwordx4 s[16:19], s[4:5], 0x0
	s_mov_b32 s2, s7
	v_and_b32_e32 v3, 0x3ff, v0
	v_bfe_u32 v0, v0, 10, 10
	s_waitcnt lgkmcnt(0)
	s_add_i32 s0, s17, -1
	s_ashr_i32 s1, s0, 31
	s_lshr_b32 s1, s1, 28
	s_add_i32 s0, s0, s1
	s_ashr_i32 s0, s0, 4
	s_add_i32 s1, s0, 1
	v_cvt_f32_u32_e32 v1, s1
	s_not_b32 s0, s0
	v_rcp_iflag_f32_e32 v1, v1
	v_mul_f32_e32 v1, 0x4f7ffffe, v1
	v_cvt_u32_f32_e32 v1, v1
	v_readfirstlane_b32 s3, v1
	s_mul_i32 s0, s0, s3
	s_mul_hi_u32 s0, s3, s0
	s_add_i32 s3, s3, s0
	s_mul_hi_u32 s0, s6, s3
	s_mul_i32 s3, s0, s1
	s_sub_i32 s3, s6, s3
	s_add_i32 s7, s0, 1
	s_sub_i32 s8, s3, s1
	s_cmp_ge_u32 s3, s1
	s_cselect_b32 s0, s7, s0
	s_cselect_b32 s3, s8, s3
	s_add_i32 s7, s0, 1
	s_cmp_ge_u32 s3, s1
	s_cselect_b32 s0, s7, s0
	s_mul_i32 s1, s0, s1
	v_lshl_add_u32 v2, s0, 4, v0
	s_sub_i32 s0, s6, s1
	v_lshl_add_u32 v4, s0, 4, v3
	v_cmp_gt_i32_e32 vcc, s17, v4
	v_cmp_gt_i32_e64 s[0:1], s18, v2
	s_and_b64 s[0:1], vcc, s[0:1]
	s_and_saveexec_b64 s[6:7], s[0:1]
	s_cbranch_execz .LBB46_6
; %bb.1:
	s_load_dwordx4 s[20:23], s[4:5], 0x40
	s_load_dwordx8 s[8:15], s[4:5], 0x10
	s_load_dwordx2 s[6:7], s[4:5], 0x50
	s_mov_b32 s3, 0
	s_lshl_b64 s[0:1], s[2:3], 3
	s_waitcnt lgkmcnt(0)
	s_add_u32 s2, s20, s0
	s_addc_u32 s3, s21, s1
	s_load_dwordx2 s[2:3], s[2:3], 0x0
	v_ashrrev_i32_e32 v5, 31, v4
	v_ashrrev_i32_e32 v3, 31, v2
	v_mul_lo_u32 v6, v2, s7
	s_lshl_b64 s[18:19], s[22:23], 3
	v_mul_lo_u32 v7, v3, s6
	v_mad_u64_u32 v[0:1], s[6:7], v2, s6, v[4:5]
	s_waitcnt lgkmcnt(0)
	s_add_u32 s2, s2, s18
	v_add3_u32 v1, v7, v1, v6
	v_cmp_neq_f64_e64 s[6:7], s[10:11], 0
	s_addc_u32 s3, s3, s19
	s_and_b64 vcc, exec, s[6:7]
	v_lshlrev_b64 v[0:1], 3, v[0:1]
	s_cbranch_vccz .LBB46_7
; %bb.2:
	s_add_u32 s0, s12, s0
	s_addc_u32 s1, s13, s1
	s_load_dwordx2 s[6:7], s[0:1], 0x0
	s_load_dwordx2 s[12:13], s[4:5], 0x30
	s_lshl_b64 s[0:1], s[14:15], 3
	s_waitcnt lgkmcnt(0)
	s_add_u32 s4, s6, s0
	s_addc_u32 s5, s7, s1
	s_cmpk_eq_i32 s16, 0x6f
	s_cselect_b64 vcc, -1, 0
	v_cndmask_b32_e32 v6, v4, v2, vcc
	v_cndmask_b32_e32 v7, v5, v3, vcc
	v_cndmask_b32_e32 v3, v3, v5, vcc
	v_cndmask_b32_e32 v2, v2, v4, vcc
	v_mul_lo_u32 v7, v7, s12
	v_mul_lo_u32 v8, v6, s13
	v_mad_u64_u32 v[4:5], s[0:1], v6, s12, 0
	v_add3_u32 v5, v5, v8, v7
	v_lshlrev_b64 v[4:5], 3, v[4:5]
	v_mov_b32_e32 v6, s5
	v_add_co_u32_e32 v4, vcc, s4, v4
	v_addc_co_u32_e32 v5, vcc, v6, v5, vcc
	v_lshlrev_b64 v[2:3], 3, v[2:3]
	v_add_co_u32_e32 v2, vcc, v4, v2
	v_addc_co_u32_e32 v3, vcc, v5, v3, vcc
	global_load_dwordx2 v[4:5], v[2:3], off
	v_mov_b32_e32 v3, s3
	v_add_co_u32_e32 v2, vcc, s2, v0
	v_cmp_neq_f64_e64 s[4:5], s[8:9], 0
	v_addc_co_u32_e32 v3, vcc, v3, v1, vcc
	s_mov_b64 s[0:1], 0
	s_and_b64 vcc, exec, s[4:5]
	s_waitcnt vmcnt(0)
	v_mul_f64 v[4:5], v[4:5], s[10:11]
	s_cbranch_vccz .LBB46_11
; %bb.3:
	global_load_dwordx2 v[6:7], v[2:3], off
	s_waitcnt vmcnt(0)
	v_fma_f64 v[6:7], s[8:9], v[6:7], v[4:5]
	global_store_dwordx2 v[2:3], v[6:7], off
	s_andn2_b64 vcc, exec, s[0:1]
	s_cbranch_vccnz .LBB46_5
.LBB46_4:
	global_store_dwordx2 v[2:3], v[4:5], off
.LBB46_5:
	s_cbranch_execz .LBB46_8
.LBB46_6:
	s_endpgm
.LBB46_7:
.LBB46_8:
	v_cmp_eq_f64_e64 s[0:1], s[8:9], 0
	v_pk_mov_b32 v[2:3], 0, 0
	s_and_b64 vcc, exec, s[0:1]
	s_cbranch_vccnz .LBB46_10
; %bb.9:
	v_mov_b32_e32 v3, s3
	v_add_co_u32_e32 v2, vcc, s2, v0
	v_addc_co_u32_e32 v3, vcc, v3, v1, vcc
	global_load_dwordx2 v[2:3], v[2:3], off
	s_waitcnt vmcnt(0)
	v_mul_f64 v[2:3], v[2:3], s[8:9]
.LBB46_10:
	v_mov_b32_e32 v4, s3
	v_add_co_u32_e32 v0, vcc, s2, v0
	v_addc_co_u32_e32 v1, vcc, v4, v1, vcc
	global_store_dwordx2 v[0:1], v[2:3], off
	s_endpgm
.LBB46_11:
	s_branch .LBB46_4
	.section	.rodata,"a",@progbits
	.p2align	6, 0x0
	.amdhsa_kernel _ZL27rocblas_geam_inplace_deviceILi16ELi16EdPKPKdPKPdEv18rocblas_operation_iiT1_S8_T2_lllT3_llli
		.amdhsa_group_segment_fixed_size 0
		.amdhsa_private_segment_fixed_size 0
		.amdhsa_kernarg_size 100
		.amdhsa_user_sgpr_count 6
		.amdhsa_user_sgpr_private_segment_buffer 1
		.amdhsa_user_sgpr_dispatch_ptr 0
		.amdhsa_user_sgpr_queue_ptr 0
		.amdhsa_user_sgpr_kernarg_segment_ptr 1
		.amdhsa_user_sgpr_dispatch_id 0
		.amdhsa_user_sgpr_flat_scratch_init 0
		.amdhsa_user_sgpr_kernarg_preload_length 0
		.amdhsa_user_sgpr_kernarg_preload_offset 0
		.amdhsa_user_sgpr_private_segment_size 0
		.amdhsa_uses_dynamic_stack 0
		.amdhsa_system_sgpr_private_segment_wavefront_offset 0
		.amdhsa_system_sgpr_workgroup_id_x 1
		.amdhsa_system_sgpr_workgroup_id_y 0
		.amdhsa_system_sgpr_workgroup_id_z 1
		.amdhsa_system_sgpr_workgroup_info 0
		.amdhsa_system_vgpr_workitem_id 1
		.amdhsa_next_free_vgpr 9
		.amdhsa_next_free_sgpr 24
		.amdhsa_accum_offset 12
		.amdhsa_reserve_vcc 1
		.amdhsa_reserve_flat_scratch 0
		.amdhsa_float_round_mode_32 0
		.amdhsa_float_round_mode_16_64 0
		.amdhsa_float_denorm_mode_32 3
		.amdhsa_float_denorm_mode_16_64 3
		.amdhsa_dx10_clamp 1
		.amdhsa_ieee_mode 1
		.amdhsa_fp16_overflow 0
		.amdhsa_tg_split 0
		.amdhsa_exception_fp_ieee_invalid_op 0
		.amdhsa_exception_fp_denorm_src 0
		.amdhsa_exception_fp_ieee_div_zero 0
		.amdhsa_exception_fp_ieee_overflow 0
		.amdhsa_exception_fp_ieee_underflow 0
		.amdhsa_exception_fp_ieee_inexact 0
		.amdhsa_exception_int_div_zero 0
	.end_amdhsa_kernel
	.section	.text._ZL27rocblas_geam_inplace_deviceILi16ELi16EdPKPKdPKPdEv18rocblas_operation_iiT1_S8_T2_lllT3_llli,"axG",@progbits,_ZL27rocblas_geam_inplace_deviceILi16ELi16EdPKPKdPKPdEv18rocblas_operation_iiT1_S8_T2_lllT3_llli,comdat
.Lfunc_end46:
	.size	_ZL27rocblas_geam_inplace_deviceILi16ELi16EdPKPKdPKPdEv18rocblas_operation_iiT1_S8_T2_lllT3_llli, .Lfunc_end46-_ZL27rocblas_geam_inplace_deviceILi16ELi16EdPKPKdPKPdEv18rocblas_operation_iiT1_S8_T2_lllT3_llli
                                        ; -- End function
	.section	.AMDGPU.csdata,"",@progbits
; Kernel info:
; codeLenInByte = 640
; NumSgprs: 28
; NumVgprs: 9
; NumAgprs: 0
; TotalNumVgprs: 9
; ScratchSize: 0
; MemoryBound: 0
; FloatMode: 240
; IeeeMode: 1
; LDSByteSize: 0 bytes/workgroup (compile time only)
; SGPRBlocks: 3
; VGPRBlocks: 1
; NumSGPRsForWavesPerEU: 28
; NumVGPRsForWavesPerEU: 9
; AccumOffset: 12
; Occupancy: 8
; WaveLimiterHint : 1
; COMPUTE_PGM_RSRC2:SCRATCH_EN: 0
; COMPUTE_PGM_RSRC2:USER_SGPR: 6
; COMPUTE_PGM_RSRC2:TRAP_HANDLER: 0
; COMPUTE_PGM_RSRC2:TGID_X_EN: 1
; COMPUTE_PGM_RSRC2:TGID_Y_EN: 0
; COMPUTE_PGM_RSRC2:TGID_Z_EN: 1
; COMPUTE_PGM_RSRC2:TIDIG_COMP_CNT: 1
; COMPUTE_PGM_RSRC3_GFX90A:ACCUM_OFFSET: 2
; COMPUTE_PGM_RSRC3_GFX90A:TG_SPLIT: 0
	.section	.text._ZL27rocblas_geam_inplace_deviceILi16ELi16EPKdPKS1_PKPdEv18rocblas_operation_iiT1_S8_T2_lllT3_llli,"axG",@progbits,_ZL27rocblas_geam_inplace_deviceILi16ELi16EPKdPKS1_PKPdEv18rocblas_operation_iiT1_S8_T2_lllT3_llli,comdat
	.globl	_ZL27rocblas_geam_inplace_deviceILi16ELi16EPKdPKS1_PKPdEv18rocblas_operation_iiT1_S8_T2_lllT3_llli ; -- Begin function _ZL27rocblas_geam_inplace_deviceILi16ELi16EPKdPKS1_PKPdEv18rocblas_operation_iiT1_S8_T2_lllT3_llli
	.p2align	8
	.type	_ZL27rocblas_geam_inplace_deviceILi16ELi16EPKdPKS1_PKPdEv18rocblas_operation_iiT1_S8_T2_lllT3_llli,@function
_ZL27rocblas_geam_inplace_deviceILi16ELi16EPKdPKS1_PKPdEv18rocblas_operation_iiT1_S8_T2_lllT3_llli: ; @_ZL27rocblas_geam_inplace_deviceILi16ELi16EPKdPKS1_PKPdEv18rocblas_operation_iiT1_S8_T2_lllT3_llli
; %bb.0:
	s_load_dwordx4 s[16:19], s[4:5], 0x0
	s_mov_b32 s2, s7
	v_and_b32_e32 v3, 0x3ff, v0
	v_bfe_u32 v0, v0, 10, 10
	s_waitcnt lgkmcnt(0)
	s_add_i32 s0, s17, -1
	s_ashr_i32 s1, s0, 31
	s_lshr_b32 s1, s1, 28
	s_add_i32 s0, s0, s1
	s_ashr_i32 s0, s0, 4
	s_add_i32 s1, s0, 1
	v_cvt_f32_u32_e32 v1, s1
	s_not_b32 s0, s0
	v_rcp_iflag_f32_e32 v1, v1
	v_mul_f32_e32 v1, 0x4f7ffffe, v1
	v_cvt_u32_f32_e32 v1, v1
	v_readfirstlane_b32 s3, v1
	s_mul_i32 s0, s0, s3
	s_mul_hi_u32 s0, s3, s0
	s_add_i32 s3, s3, s0
	s_mul_hi_u32 s0, s6, s3
	s_mul_i32 s3, s0, s1
	s_sub_i32 s3, s6, s3
	s_add_i32 s7, s0, 1
	s_sub_i32 s8, s3, s1
	s_cmp_ge_u32 s3, s1
	s_cselect_b32 s0, s7, s0
	s_cselect_b32 s3, s8, s3
	s_add_i32 s7, s0, 1
	s_cmp_ge_u32 s3, s1
	s_cselect_b32 s0, s7, s0
	s_mul_i32 s1, s0, s1
	v_lshl_add_u32 v2, s0, 4, v0
	s_sub_i32 s0, s6, s1
	v_lshl_add_u32 v4, s0, 4, v3
	v_cmp_gt_i32_e32 vcc, s17, v4
	v_cmp_gt_i32_e64 s[0:1], s18, v2
	s_and_b64 s[0:1], vcc, s[0:1]
	s_and_saveexec_b64 s[6:7], s[0:1]
	s_cbranch_execz .LBB47_6
; %bb.1:
	s_load_dwordx4 s[20:23], s[4:5], 0x40
	s_load_dwordx8 s[8:15], s[4:5], 0x10
	s_load_dwordx2 s[18:19], s[4:5], 0x50
	s_mov_b32 s3, 0
	s_lshl_b64 s[6:7], s[2:3], 3
	s_waitcnt lgkmcnt(0)
	s_add_u32 s0, s20, s6
	s_addc_u32 s1, s21, s7
	s_load_dwordx2 s[20:21], s[0:1], 0x0
	s_nop 0
	s_load_dwordx2 s[0:1], s[8:9], 0x0
	s_load_dwordx2 s[2:3], s[10:11], 0x0
	v_ashrrev_i32_e32 v5, 31, v4
	v_ashrrev_i32_e32 v3, 31, v2
	s_lshl_b64 s[8:9], s[22:23], 3
	v_mul_lo_u32 v6, v2, s19
	v_mul_lo_u32 v7, v3, s18
	v_mad_u64_u32 v[0:1], s[10:11], v2, s18, v[4:5]
	s_waitcnt lgkmcnt(0)
	s_add_u32 s8, s20, s8
	v_add3_u32 v1, v7, v1, v6
	v_cmp_neq_f64_e64 s[10:11], s[2:3], 0
	s_addc_u32 s9, s21, s9
	s_and_b64 vcc, exec, s[10:11]
	v_lshlrev_b64 v[0:1], 3, v[0:1]
	s_cbranch_vccz .LBB47_7
; %bb.2:
	s_add_u32 s6, s12, s6
	s_addc_u32 s7, s13, s7
	s_load_dwordx2 s[10:11], s[6:7], 0x0
	s_load_dwordx2 s[12:13], s[4:5], 0x30
	s_lshl_b64 s[4:5], s[14:15], 3
	s_waitcnt lgkmcnt(0)
	s_add_u32 s6, s10, s4
	s_addc_u32 s7, s11, s5
	s_cmpk_eq_i32 s16, 0x6f
	s_cselect_b64 vcc, -1, 0
	v_cndmask_b32_e32 v6, v4, v2, vcc
	v_cndmask_b32_e32 v7, v5, v3, vcc
	;; [unrolled: 1-line block ×4, first 2 shown]
	v_mul_lo_u32 v7, v7, s12
	v_mul_lo_u32 v8, v6, s13
	v_mad_u64_u32 v[4:5], s[4:5], v6, s12, 0
	v_add3_u32 v5, v5, v8, v7
	v_lshlrev_b64 v[4:5], 3, v[4:5]
	v_mov_b32_e32 v6, s7
	v_add_co_u32_e32 v4, vcc, s6, v4
	v_addc_co_u32_e32 v5, vcc, v6, v5, vcc
	v_lshlrev_b64 v[2:3], 3, v[2:3]
	v_add_co_u32_e32 v2, vcc, v4, v2
	v_addc_co_u32_e32 v3, vcc, v5, v3, vcc
	global_load_dwordx2 v[4:5], v[2:3], off
	v_mov_b32_e32 v3, s9
	v_add_co_u32_e32 v2, vcc, s8, v0
	v_cmp_neq_f64_e64 s[6:7], s[0:1], 0
	v_addc_co_u32_e32 v3, vcc, v3, v1, vcc
	s_mov_b64 s[4:5], 0
	s_and_b64 vcc, exec, s[6:7]
	s_waitcnt vmcnt(0)
	v_mul_f64 v[4:5], s[2:3], v[4:5]
	s_cbranch_vccz .LBB47_11
; %bb.3:
	global_load_dwordx2 v[6:7], v[2:3], off
	s_waitcnt vmcnt(0)
	v_fma_f64 v[6:7], s[0:1], v[6:7], v[4:5]
	global_store_dwordx2 v[2:3], v[6:7], off
	s_andn2_b64 vcc, exec, s[4:5]
	s_cbranch_vccnz .LBB47_5
.LBB47_4:
	global_store_dwordx2 v[2:3], v[4:5], off
.LBB47_5:
	s_cbranch_execz .LBB47_8
.LBB47_6:
	s_endpgm
.LBB47_7:
.LBB47_8:
	v_cmp_eq_f64_e64 s[2:3], s[0:1], 0
	v_pk_mov_b32 v[2:3], 0, 0
	s_and_b64 vcc, exec, s[2:3]
	s_cbranch_vccnz .LBB47_10
; %bb.9:
	v_mov_b32_e32 v3, s9
	v_add_co_u32_e32 v2, vcc, s8, v0
	v_addc_co_u32_e32 v3, vcc, v3, v1, vcc
	global_load_dwordx2 v[2:3], v[2:3], off
	s_waitcnt vmcnt(0)
	v_mul_f64 v[2:3], s[0:1], v[2:3]
.LBB47_10:
	v_mov_b32_e32 v4, s9
	v_add_co_u32_e32 v0, vcc, s8, v0
	v_addc_co_u32_e32 v1, vcc, v4, v1, vcc
	global_store_dwordx2 v[0:1], v[2:3], off
	s_endpgm
.LBB47_11:
	s_branch .LBB47_4
	.section	.rodata,"a",@progbits
	.p2align	6, 0x0
	.amdhsa_kernel _ZL27rocblas_geam_inplace_deviceILi16ELi16EPKdPKS1_PKPdEv18rocblas_operation_iiT1_S8_T2_lllT3_llli
		.amdhsa_group_segment_fixed_size 0
		.amdhsa_private_segment_fixed_size 0
		.amdhsa_kernarg_size 100
		.amdhsa_user_sgpr_count 6
		.amdhsa_user_sgpr_private_segment_buffer 1
		.amdhsa_user_sgpr_dispatch_ptr 0
		.amdhsa_user_sgpr_queue_ptr 0
		.amdhsa_user_sgpr_kernarg_segment_ptr 1
		.amdhsa_user_sgpr_dispatch_id 0
		.amdhsa_user_sgpr_flat_scratch_init 0
		.amdhsa_user_sgpr_kernarg_preload_length 0
		.amdhsa_user_sgpr_kernarg_preload_offset 0
		.amdhsa_user_sgpr_private_segment_size 0
		.amdhsa_uses_dynamic_stack 0
		.amdhsa_system_sgpr_private_segment_wavefront_offset 0
		.amdhsa_system_sgpr_workgroup_id_x 1
		.amdhsa_system_sgpr_workgroup_id_y 0
		.amdhsa_system_sgpr_workgroup_id_z 1
		.amdhsa_system_sgpr_workgroup_info 0
		.amdhsa_system_vgpr_workitem_id 1
		.amdhsa_next_free_vgpr 9
		.amdhsa_next_free_sgpr 24
		.amdhsa_accum_offset 12
		.amdhsa_reserve_vcc 1
		.amdhsa_reserve_flat_scratch 0
		.amdhsa_float_round_mode_32 0
		.amdhsa_float_round_mode_16_64 0
		.amdhsa_float_denorm_mode_32 3
		.amdhsa_float_denorm_mode_16_64 3
		.amdhsa_dx10_clamp 1
		.amdhsa_ieee_mode 1
		.amdhsa_fp16_overflow 0
		.amdhsa_tg_split 0
		.amdhsa_exception_fp_ieee_invalid_op 0
		.amdhsa_exception_fp_denorm_src 0
		.amdhsa_exception_fp_ieee_div_zero 0
		.amdhsa_exception_fp_ieee_overflow 0
		.amdhsa_exception_fp_ieee_underflow 0
		.amdhsa_exception_fp_ieee_inexact 0
		.amdhsa_exception_int_div_zero 0
	.end_amdhsa_kernel
	.section	.text._ZL27rocblas_geam_inplace_deviceILi16ELi16EPKdPKS1_PKPdEv18rocblas_operation_iiT1_S8_T2_lllT3_llli,"axG",@progbits,_ZL27rocblas_geam_inplace_deviceILi16ELi16EPKdPKS1_PKPdEv18rocblas_operation_iiT1_S8_T2_lllT3_llli,comdat
.Lfunc_end47:
	.size	_ZL27rocblas_geam_inplace_deviceILi16ELi16EPKdPKS1_PKPdEv18rocblas_operation_iiT1_S8_T2_lllT3_llli, .Lfunc_end47-_ZL27rocblas_geam_inplace_deviceILi16ELi16EPKdPKS1_PKPdEv18rocblas_operation_iiT1_S8_T2_lllT3_llli
                                        ; -- End function
	.section	.AMDGPU.csdata,"",@progbits
; Kernel info:
; codeLenInByte = 660
; NumSgprs: 28
; NumVgprs: 9
; NumAgprs: 0
; TotalNumVgprs: 9
; ScratchSize: 0
; MemoryBound: 0
; FloatMode: 240
; IeeeMode: 1
; LDSByteSize: 0 bytes/workgroup (compile time only)
; SGPRBlocks: 3
; VGPRBlocks: 1
; NumSGPRsForWavesPerEU: 28
; NumVGPRsForWavesPerEU: 9
; AccumOffset: 12
; Occupancy: 8
; WaveLimiterHint : 1
; COMPUTE_PGM_RSRC2:SCRATCH_EN: 0
; COMPUTE_PGM_RSRC2:USER_SGPR: 6
; COMPUTE_PGM_RSRC2:TRAP_HANDLER: 0
; COMPUTE_PGM_RSRC2:TGID_X_EN: 1
; COMPUTE_PGM_RSRC2:TGID_Y_EN: 0
; COMPUTE_PGM_RSRC2:TGID_Z_EN: 1
; COMPUTE_PGM_RSRC2:TIDIG_COMP_CNT: 1
; COMPUTE_PGM_RSRC3_GFX90A:ACCUM_OFFSET: 2
; COMPUTE_PGM_RSRC3_GFX90A:TG_SPLIT: 0
	.section	.text._ZL30rocblas_geam_1D_2matrix_deviceILi256EdPKPKdPKPdEvmT0_T1_llT2_lli,"axG",@progbits,_ZL30rocblas_geam_1D_2matrix_deviceILi256EdPKPKdPKPdEvmT0_T1_llT2_lli,comdat
	.globl	_ZL30rocblas_geam_1D_2matrix_deviceILi256EdPKPKdPKPdEvmT0_T1_llT2_lli ; -- Begin function _ZL30rocblas_geam_1D_2matrix_deviceILi256EdPKPKdPKPdEvmT0_T1_llT2_lli
	.p2align	8
	.type	_ZL30rocblas_geam_1D_2matrix_deviceILi256EdPKPKdPKPdEvmT0_T1_llT2_lli,@function
_ZL30rocblas_geam_1D_2matrix_deviceILi256EdPKPKdPKPdEvmT0_T1_llT2_lli: ; @_ZL30rocblas_geam_1D_2matrix_deviceILi256EdPKPKdPKPdEvmT0_T1_llT2_lli
; %bb.0:
	s_load_dword s0, s[4:5], 0x54
	s_load_dwordx8 s[8:15], s[4:5], 0x0
	v_mov_b32_e32 v1, 0
	v_mov_b32_e32 v2, s6
	s_waitcnt lgkmcnt(0)
	s_and_b32 s0, s0, 0xffff
	v_mad_u64_u32 v[0:1], s[0:1], s0, v2, v[0:1]
	v_cmp_gt_u64_e32 vcc, s[8:9], v[0:1]
	s_and_saveexec_b64 s[0:1], vcc
	s_cbranch_execz .LBB48_4
; %bb.1:
	s_load_dwordx4 s[0:3], s[4:5], 0x28
	s_mov_b32 s16, s7
	s_mov_b32 s17, 0
	s_lshl_b64 s[4:5], s[16:17], 3
	v_cmp_eq_f64_e64 s[6:7], s[10:11], 0
	s_waitcnt lgkmcnt(0)
	s_add_u32 s0, s0, s4
	s_addc_u32 s1, s1, s5
	s_load_dwordx2 s[0:1], s[0:1], 0x0
	v_pk_mov_b32 v[2:3], 0, 0
	s_and_b64 vcc, exec, s[6:7]
	v_lshlrev_b64 v[0:1], 3, v[0:1]
	s_cbranch_vccnz .LBB48_3
; %bb.2:
	s_add_u32 s4, s12, s4
	s_addc_u32 s5, s13, s5
	s_load_dwordx2 s[4:5], s[4:5], 0x0
	s_lshl_b64 s[6:7], s[14:15], 3
	s_waitcnt lgkmcnt(0)
	s_add_u32 s4, s4, s6
	s_addc_u32 s5, s5, s7
	v_mov_b32_e32 v3, s5
	v_add_co_u32_e32 v2, vcc, s4, v0
	v_addc_co_u32_e32 v3, vcc, v3, v1, vcc
	global_load_dwordx2 v[2:3], v[2:3], off
	s_waitcnt vmcnt(0)
	v_mul_f64 v[2:3], v[2:3], s[10:11]
.LBB48_3:
	s_lshl_b64 s[2:3], s[2:3], 3
	s_waitcnt lgkmcnt(0)
	s_add_u32 s0, s0, s2
	s_addc_u32 s1, s1, s3
	v_mov_b32_e32 v4, s1
	v_add_co_u32_e32 v0, vcc, s0, v0
	v_addc_co_u32_e32 v1, vcc, v4, v1, vcc
	global_store_dwordx2 v[0:1], v[2:3], off
.LBB48_4:
	s_endpgm
	.section	.rodata,"a",@progbits
	.p2align	6, 0x0
	.amdhsa_kernel _ZL30rocblas_geam_1D_2matrix_deviceILi256EdPKPKdPKPdEvmT0_T1_llT2_lli
		.amdhsa_group_segment_fixed_size 0
		.amdhsa_private_segment_fixed_size 0
		.amdhsa_kernarg_size 328
		.amdhsa_user_sgpr_count 6
		.amdhsa_user_sgpr_private_segment_buffer 1
		.amdhsa_user_sgpr_dispatch_ptr 0
		.amdhsa_user_sgpr_queue_ptr 0
		.amdhsa_user_sgpr_kernarg_segment_ptr 1
		.amdhsa_user_sgpr_dispatch_id 0
		.amdhsa_user_sgpr_flat_scratch_init 0
		.amdhsa_user_sgpr_kernarg_preload_length 0
		.amdhsa_user_sgpr_kernarg_preload_offset 0
		.amdhsa_user_sgpr_private_segment_size 0
		.amdhsa_uses_dynamic_stack 0
		.amdhsa_system_sgpr_private_segment_wavefront_offset 0
		.amdhsa_system_sgpr_workgroup_id_x 1
		.amdhsa_system_sgpr_workgroup_id_y 0
		.amdhsa_system_sgpr_workgroup_id_z 1
		.amdhsa_system_sgpr_workgroup_info 0
		.amdhsa_system_vgpr_workitem_id 0
		.amdhsa_next_free_vgpr 5
		.amdhsa_next_free_sgpr 18
		.amdhsa_accum_offset 8
		.amdhsa_reserve_vcc 1
		.amdhsa_reserve_flat_scratch 0
		.amdhsa_float_round_mode_32 0
		.amdhsa_float_round_mode_16_64 0
		.amdhsa_float_denorm_mode_32 3
		.amdhsa_float_denorm_mode_16_64 3
		.amdhsa_dx10_clamp 1
		.amdhsa_ieee_mode 1
		.amdhsa_fp16_overflow 0
		.amdhsa_tg_split 0
		.amdhsa_exception_fp_ieee_invalid_op 0
		.amdhsa_exception_fp_denorm_src 0
		.amdhsa_exception_fp_ieee_div_zero 0
		.amdhsa_exception_fp_ieee_overflow 0
		.amdhsa_exception_fp_ieee_underflow 0
		.amdhsa_exception_fp_ieee_inexact 0
		.amdhsa_exception_int_div_zero 0
	.end_amdhsa_kernel
	.section	.text._ZL30rocblas_geam_1D_2matrix_deviceILi256EdPKPKdPKPdEvmT0_T1_llT2_lli,"axG",@progbits,_ZL30rocblas_geam_1D_2matrix_deviceILi256EdPKPKdPKPdEvmT0_T1_llT2_lli,comdat
.Lfunc_end48:
	.size	_ZL30rocblas_geam_1D_2matrix_deviceILi256EdPKPKdPKPdEvmT0_T1_llT2_lli, .Lfunc_end48-_ZL30rocblas_geam_1D_2matrix_deviceILi256EdPKPKdPKPdEvmT0_T1_llT2_lli
                                        ; -- End function
	.section	.AMDGPU.csdata,"",@progbits
; Kernel info:
; codeLenInByte = 232
; NumSgprs: 22
; NumVgprs: 5
; NumAgprs: 0
; TotalNumVgprs: 5
; ScratchSize: 0
; MemoryBound: 0
; FloatMode: 240
; IeeeMode: 1
; LDSByteSize: 0 bytes/workgroup (compile time only)
; SGPRBlocks: 2
; VGPRBlocks: 0
; NumSGPRsForWavesPerEU: 22
; NumVGPRsForWavesPerEU: 5
; AccumOffset: 8
; Occupancy: 8
; WaveLimiterHint : 1
; COMPUTE_PGM_RSRC2:SCRATCH_EN: 0
; COMPUTE_PGM_RSRC2:USER_SGPR: 6
; COMPUTE_PGM_RSRC2:TRAP_HANDLER: 0
; COMPUTE_PGM_RSRC2:TGID_X_EN: 1
; COMPUTE_PGM_RSRC2:TGID_Y_EN: 0
; COMPUTE_PGM_RSRC2:TGID_Z_EN: 1
; COMPUTE_PGM_RSRC2:TIDIG_COMP_CNT: 0
; COMPUTE_PGM_RSRC3_GFX90A:ACCUM_OFFSET: 1
; COMPUTE_PGM_RSRC3_GFX90A:TG_SPLIT: 0
	.section	.text._ZL27rocblas_geam_2matrix_deviceILi16ELi16EdPKPKdPKPdEv18rocblas_operation_iiT1_T2_lllT3_llli,"axG",@progbits,_ZL27rocblas_geam_2matrix_deviceILi16ELi16EdPKPKdPKPdEv18rocblas_operation_iiT1_T2_lllT3_llli,comdat
	.globl	_ZL27rocblas_geam_2matrix_deviceILi16ELi16EdPKPKdPKPdEv18rocblas_operation_iiT1_T2_lllT3_llli ; -- Begin function _ZL27rocblas_geam_2matrix_deviceILi16ELi16EdPKPKdPKPdEv18rocblas_operation_iiT1_T2_lllT3_llli
	.p2align	8
	.type	_ZL27rocblas_geam_2matrix_deviceILi16ELi16EdPKPKdPKPdEv18rocblas_operation_iiT1_T2_lllT3_llli,@function
_ZL27rocblas_geam_2matrix_deviceILi16ELi16EdPKPKdPKPdEv18rocblas_operation_iiT1_T2_lllT3_llli: ; @_ZL27rocblas_geam_2matrix_deviceILi16ELi16EdPKPKdPKPdEv18rocblas_operation_iiT1_T2_lllT3_llli
; %bb.0:
	s_load_dwordx4 s[16:19], s[4:5], 0x0
	s_mov_b32 s20, s7
	v_and_b32_e32 v2, 0x3ff, v0
	v_bfe_u32 v0, v0, 10, 10
	s_waitcnt lgkmcnt(0)
	s_add_i32 s0, s17, -1
	s_ashr_i32 s1, s0, 31
	s_lshr_b32 s1, s1, 28
	s_add_i32 s0, s0, s1
	s_ashr_i32 s0, s0, 4
	s_add_i32 s1, s0, 1
	v_cvt_f32_u32_e32 v1, s1
	s_not_b32 s0, s0
	v_rcp_iflag_f32_e32 v1, v1
	v_mul_f32_e32 v1, 0x4f7ffffe, v1
	v_cvt_u32_f32_e32 v1, v1
	v_readfirstlane_b32 s2, v1
	s_mul_i32 s0, s0, s2
	s_mul_hi_u32 s0, s2, s0
	s_add_i32 s2, s2, s0
	s_mul_hi_u32 s0, s6, s2
	s_mul_i32 s2, s0, s1
	s_sub_i32 s2, s6, s2
	s_add_i32 s3, s0, 1
	s_sub_i32 s7, s2, s1
	s_cmp_ge_u32 s2, s1
	s_cselect_b32 s0, s3, s0
	s_cselect_b32 s2, s7, s2
	s_add_i32 s3, s0, 1
	s_cmp_ge_u32 s2, s1
	s_cselect_b32 s0, s3, s0
	s_mul_i32 s1, s0, s1
	v_lshl_add_u32 v4, s0, 4, v0
	s_sub_i32 s0, s6, s1
	v_lshl_add_u32 v0, s0, 4, v2
	v_cmp_gt_i32_e32 vcc, s17, v0
	v_cmp_gt_i32_e64 s[0:1], s18, v4
	s_and_b64 s[0:1], vcc, s[0:1]
	s_and_saveexec_b64 s[2:3], s[0:1]
	s_cbranch_execz .LBB49_4
; %bb.1:
	s_load_dwordx4 s[0:3], s[4:5], 0x38
	s_load_dwordx8 s[8:15], s[4:5], 0x10
	s_load_dwordx2 s[6:7], s[4:5], 0x48
	s_mov_b32 s21, 0
	s_lshl_b64 s[4:5], s[20:21], 3
	s_waitcnt lgkmcnt(0)
	s_add_u32 s0, s0, s4
	s_addc_u32 s1, s1, s5
	s_load_dwordx2 s[0:1], s[0:1], 0x0
	v_cmp_eq_f64_e64 s[18:19], s[8:9], 0
	v_ashrrev_i32_e32 v1, 31, v0
	v_ashrrev_i32_e32 v5, 31, v4
	v_pk_mov_b32 v[2:3], 0, 0
	s_and_b64 vcc, exec, s[18:19]
	s_cbranch_vccnz .LBB49_3
; %bb.2:
	s_add_u32 s4, s10, s4
	s_addc_u32 s5, s11, s5
	s_load_dwordx2 s[4:5], s[4:5], 0x0
	s_lshl_b64 s[10:11], s[12:13], 3
	s_waitcnt lgkmcnt(0)
	s_add_u32 s10, s4, s10
	s_addc_u32 s11, s5, s11
	s_cmpk_eq_i32 s16, 0x6f
	s_cselect_b64 vcc, -1, 0
	v_cndmask_b32_e32 v6, v0, v4, vcc
	v_cndmask_b32_e32 v7, v1, v5, vcc
	v_mul_lo_u32 v8, v7, s14
	v_mul_lo_u32 v9, v6, s15
	v_mad_u64_u32 v[6:7], s[4:5], v6, s14, 0
	v_add3_u32 v7, v7, v9, v8
	v_lshlrev_b64 v[6:7], 3, v[6:7]
	v_cndmask_b32_e32 v3, v5, v1, vcc
	v_cndmask_b32_e32 v2, v4, v0, vcc
	v_mov_b32_e32 v8, s11
	v_add_co_u32_e32 v6, vcc, s10, v6
	v_addc_co_u32_e32 v7, vcc, v8, v7, vcc
	v_lshlrev_b64 v[2:3], 3, v[2:3]
	v_add_co_u32_e32 v2, vcc, v6, v2
	v_addc_co_u32_e32 v3, vcc, v7, v3, vcc
	global_load_dwordx2 v[2:3], v[2:3], off
	s_waitcnt vmcnt(0)
	v_mul_f64 v[2:3], v[2:3], s[8:9]
.LBB49_3:
	s_lshl_b64 s[2:3], s[2:3], 3
	s_waitcnt lgkmcnt(0)
	s_add_u32 s2, s0, s2
	s_addc_u32 s3, s1, s3
	v_mul_lo_u32 v6, v5, s6
	v_mul_lo_u32 v7, v4, s7
	v_mad_u64_u32 v[4:5], s[0:1], v4, s6, 0
	v_add3_u32 v5, v5, v7, v6
	v_lshlrev_b64 v[4:5], 3, v[4:5]
	v_mov_b32_e32 v6, s3
	v_add_co_u32_e32 v4, vcc, s2, v4
	v_addc_co_u32_e32 v5, vcc, v6, v5, vcc
	v_lshlrev_b64 v[0:1], 3, v[0:1]
	v_add_co_u32_e32 v0, vcc, v4, v0
	v_addc_co_u32_e32 v1, vcc, v5, v1, vcc
	global_store_dwordx2 v[0:1], v[2:3], off
.LBB49_4:
	s_endpgm
	.section	.rodata,"a",@progbits
	.p2align	6, 0x0
	.amdhsa_kernel _ZL27rocblas_geam_2matrix_deviceILi16ELi16EdPKPKdPKPdEv18rocblas_operation_iiT1_T2_lllT3_llli
		.amdhsa_group_segment_fixed_size 0
		.amdhsa_private_segment_fixed_size 0
		.amdhsa_kernarg_size 92
		.amdhsa_user_sgpr_count 6
		.amdhsa_user_sgpr_private_segment_buffer 1
		.amdhsa_user_sgpr_dispatch_ptr 0
		.amdhsa_user_sgpr_queue_ptr 0
		.amdhsa_user_sgpr_kernarg_segment_ptr 1
		.amdhsa_user_sgpr_dispatch_id 0
		.amdhsa_user_sgpr_flat_scratch_init 0
		.amdhsa_user_sgpr_kernarg_preload_length 0
		.amdhsa_user_sgpr_kernarg_preload_offset 0
		.amdhsa_user_sgpr_private_segment_size 0
		.amdhsa_uses_dynamic_stack 0
		.amdhsa_system_sgpr_private_segment_wavefront_offset 0
		.amdhsa_system_sgpr_workgroup_id_x 1
		.amdhsa_system_sgpr_workgroup_id_y 0
		.amdhsa_system_sgpr_workgroup_id_z 1
		.amdhsa_system_sgpr_workgroup_info 0
		.amdhsa_system_vgpr_workitem_id 1
		.amdhsa_next_free_vgpr 10
		.amdhsa_next_free_sgpr 22
		.amdhsa_accum_offset 12
		.amdhsa_reserve_vcc 1
		.amdhsa_reserve_flat_scratch 0
		.amdhsa_float_round_mode_32 0
		.amdhsa_float_round_mode_16_64 0
		.amdhsa_float_denorm_mode_32 3
		.amdhsa_float_denorm_mode_16_64 3
		.amdhsa_dx10_clamp 1
		.amdhsa_ieee_mode 1
		.amdhsa_fp16_overflow 0
		.amdhsa_tg_split 0
		.amdhsa_exception_fp_ieee_invalid_op 0
		.amdhsa_exception_fp_denorm_src 0
		.amdhsa_exception_fp_ieee_div_zero 0
		.amdhsa_exception_fp_ieee_overflow 0
		.amdhsa_exception_fp_ieee_underflow 0
		.amdhsa_exception_fp_ieee_inexact 0
		.amdhsa_exception_int_div_zero 0
	.end_amdhsa_kernel
	.section	.text._ZL27rocblas_geam_2matrix_deviceILi16ELi16EdPKPKdPKPdEv18rocblas_operation_iiT1_T2_lllT3_llli,"axG",@progbits,_ZL27rocblas_geam_2matrix_deviceILi16ELi16EdPKPKdPKPdEv18rocblas_operation_iiT1_T2_lllT3_llli,comdat
.Lfunc_end49:
	.size	_ZL27rocblas_geam_2matrix_deviceILi16ELi16EdPKPKdPKPdEv18rocblas_operation_iiT1_T2_lllT3_llli, .Lfunc_end49-_ZL27rocblas_geam_2matrix_deviceILi16ELi16EdPKPKdPKPdEv18rocblas_operation_iiT1_T2_lllT3_llli
                                        ; -- End function
	.section	.AMDGPU.csdata,"",@progbits
; Kernel info:
; codeLenInByte = 512
; NumSgprs: 26
; NumVgprs: 10
; NumAgprs: 0
; TotalNumVgprs: 10
; ScratchSize: 0
; MemoryBound: 0
; FloatMode: 240
; IeeeMode: 1
; LDSByteSize: 0 bytes/workgroup (compile time only)
; SGPRBlocks: 3
; VGPRBlocks: 1
; NumSGPRsForWavesPerEU: 26
; NumVGPRsForWavesPerEU: 10
; AccumOffset: 12
; Occupancy: 8
; WaveLimiterHint : 1
; COMPUTE_PGM_RSRC2:SCRATCH_EN: 0
; COMPUTE_PGM_RSRC2:USER_SGPR: 6
; COMPUTE_PGM_RSRC2:TRAP_HANDLER: 0
; COMPUTE_PGM_RSRC2:TGID_X_EN: 1
; COMPUTE_PGM_RSRC2:TGID_Y_EN: 0
; COMPUTE_PGM_RSRC2:TGID_Z_EN: 1
; COMPUTE_PGM_RSRC2:TIDIG_COMP_CNT: 1
; COMPUTE_PGM_RSRC3_GFX90A:ACCUM_OFFSET: 2
; COMPUTE_PGM_RSRC3_GFX90A:TG_SPLIT: 0
	.section	.text._ZL22rocblas_geam_1D_deviceILi256EdPKPKdPKPdEvmT0_T1_llS7_S8_llT2_lli,"axG",@progbits,_ZL22rocblas_geam_1D_deviceILi256EdPKPKdPKPdEvmT0_T1_llS7_S8_llT2_lli,comdat
	.globl	_ZL22rocblas_geam_1D_deviceILi256EdPKPKdPKPdEvmT0_T1_llS7_S8_llT2_lli ; -- Begin function _ZL22rocblas_geam_1D_deviceILi256EdPKPKdPKPdEvmT0_T1_llS7_S8_llT2_lli
	.p2align	8
	.type	_ZL22rocblas_geam_1D_deviceILi256EdPKPKdPKPdEvmT0_T1_llS7_S8_llT2_lli,@function
_ZL22rocblas_geam_1D_deviceILi256EdPKPKdPKPdEvmT0_T1_llS7_S8_llT2_lli: ; @_ZL22rocblas_geam_1D_deviceILi256EdPKPKdPKPdEvmT0_T1_llS7_S8_llT2_lli
; %bb.0:
	s_load_dword s0, s[4:5], 0x74
	s_load_dwordx8 s[8:15], s[4:5], 0x0
	v_mov_b32_e32 v1, 0
	v_mov_b32_e32 v2, s6
	s_waitcnt lgkmcnt(0)
	s_and_b32 s0, s0, 0xffff
	v_mad_u64_u32 v[0:1], s[0:1], s0, v2, v[0:1]
	v_cmp_gt_u64_e32 vcc, s[8:9], v[0:1]
	s_and_saveexec_b64 s[0:1], vcc
	s_cbranch_execz .LBB50_12
; %bb.1:
	s_load_dwordx4 s[0:3], s[4:5], 0x48
	s_load_dwordx4 s[16:19], s[4:5], 0x28
	s_mov_b32 s20, s7
	s_mov_b32 s21, 0
	s_lshl_b64 s[20:21], s[20:21], 3
	s_waitcnt lgkmcnt(0)
	s_add_u32 s0, s0, s20
	s_addc_u32 s1, s1, s21
	s_load_dwordx2 s[0:1], s[0:1], 0x0
	v_cmp_eq_f64_e64 s[8:9], s[10:11], 0
	v_cmp_eq_f64_e64 s[24:25], s[16:17], 0
	s_and_b64 s[6:7], s[8:9], s[24:25]
	v_pk_mov_b32 v[2:3], 0, 0
	s_and_b64 vcc, exec, s[6:7]
	s_cbranch_vccnz .LBB50_11
; %bb.2:
	s_mov_b64 s[22:23], 0
	v_cmp_neq_f64_e64 s[6:7], s[10:11], 0
	s_and_b64 vcc, exec, s[8:9]
	s_mov_b64 s[8:9], 0
	s_cbranch_vccnz .LBB50_4
; %bb.3:
	s_add_u32 s8, s12, s20
	s_addc_u32 s9, s13, s21
	s_load_dwordx2 s[8:9], s[8:9], 0x0
	s_lshl_b64 s[12:13], s[14:15], 3
	s_waitcnt lgkmcnt(0)
	s_add_u32 s8, s8, s12
	s_addc_u32 s9, s9, s13
.LBB50_4:
	v_cmp_neq_f64_e64 s[12:13], s[16:17], 0
	s_and_b64 vcc, exec, s[24:25]
	s_cbranch_vccnz .LBB50_6
; %bb.5:
	s_add_u32 s14, s18, s20
	s_load_dwordx2 s[4:5], s[4:5], 0x38
	s_addc_u32 s15, s19, s21
	s_load_dwordx2 s[14:15], s[14:15], 0x0
	s_waitcnt lgkmcnt(0)
	s_lshl_b64 s[4:5], s[4:5], 3
	s_add_u32 s22, s14, s4
	s_addc_u32 s23, s15, s5
.LBB50_6:
	v_pk_mov_b32 v[2:3], 0, 0
	s_andn2_b64 vcc, exec, s[12:13]
	v_pk_mov_b32 v[4:5], v[2:3], v[2:3] op_sel:[0,1]
	s_cbranch_vccnz .LBB50_8
; %bb.7:
	v_lshlrev_b64 v[4:5], 3, v[0:1]
	v_mov_b32_e32 v6, s23
	v_add_co_u32_e32 v4, vcc, s22, v4
	v_addc_co_u32_e32 v5, vcc, v6, v5, vcc
	flat_load_dwordx2 v[4:5], v[4:5]
	s_waitcnt vmcnt(0) lgkmcnt(0)
	v_mul_f64 v[4:5], v[4:5], s[16:17]
.LBB50_8:
	s_andn2_b64 vcc, exec, s[6:7]
	s_cbranch_vccnz .LBB50_10
; %bb.9:
	v_lshlrev_b64 v[2:3], 3, v[0:1]
	v_mov_b32_e32 v6, s9
	v_add_co_u32_e32 v2, vcc, s8, v2
	v_addc_co_u32_e32 v3, vcc, v6, v3, vcc
	flat_load_dwordx2 v[2:3], v[2:3]
	s_waitcnt vmcnt(0) lgkmcnt(0)
	v_mul_f64 v[2:3], v[2:3], s[10:11]
.LBB50_10:
	v_add_f64 v[2:3], v[4:5], v[2:3]
.LBB50_11:
	s_lshl_b64 s[2:3], s[2:3], 3
	s_waitcnt lgkmcnt(0)
	s_add_u32 s0, s0, s2
	s_addc_u32 s1, s1, s3
	v_lshlrev_b64 v[0:1], 3, v[0:1]
	v_mov_b32_e32 v4, s1
	v_add_co_u32_e32 v0, vcc, s0, v0
	v_addc_co_u32_e32 v1, vcc, v4, v1, vcc
	global_store_dwordx2 v[0:1], v[2:3], off
.LBB50_12:
	s_endpgm
	.section	.rodata,"a",@progbits
	.p2align	6, 0x0
	.amdhsa_kernel _ZL22rocblas_geam_1D_deviceILi256EdPKPKdPKPdEvmT0_T1_llS7_S8_llT2_lli
		.amdhsa_group_segment_fixed_size 0
		.amdhsa_private_segment_fixed_size 0
		.amdhsa_kernarg_size 360
		.amdhsa_user_sgpr_count 6
		.amdhsa_user_sgpr_private_segment_buffer 1
		.amdhsa_user_sgpr_dispatch_ptr 0
		.amdhsa_user_sgpr_queue_ptr 0
		.amdhsa_user_sgpr_kernarg_segment_ptr 1
		.amdhsa_user_sgpr_dispatch_id 0
		.amdhsa_user_sgpr_flat_scratch_init 0
		.amdhsa_user_sgpr_kernarg_preload_length 0
		.amdhsa_user_sgpr_kernarg_preload_offset 0
		.amdhsa_user_sgpr_private_segment_size 0
		.amdhsa_uses_dynamic_stack 0
		.amdhsa_system_sgpr_private_segment_wavefront_offset 0
		.amdhsa_system_sgpr_workgroup_id_x 1
		.amdhsa_system_sgpr_workgroup_id_y 0
		.amdhsa_system_sgpr_workgroup_id_z 1
		.amdhsa_system_sgpr_workgroup_info 0
		.amdhsa_system_vgpr_workitem_id 0
		.amdhsa_next_free_vgpr 7
		.amdhsa_next_free_sgpr 26
		.amdhsa_accum_offset 8
		.amdhsa_reserve_vcc 1
		.amdhsa_reserve_flat_scratch 0
		.amdhsa_float_round_mode_32 0
		.amdhsa_float_round_mode_16_64 0
		.amdhsa_float_denorm_mode_32 3
		.amdhsa_float_denorm_mode_16_64 3
		.amdhsa_dx10_clamp 1
		.amdhsa_ieee_mode 1
		.amdhsa_fp16_overflow 0
		.amdhsa_tg_split 0
		.amdhsa_exception_fp_ieee_invalid_op 0
		.amdhsa_exception_fp_denorm_src 0
		.amdhsa_exception_fp_ieee_div_zero 0
		.amdhsa_exception_fp_ieee_overflow 0
		.amdhsa_exception_fp_ieee_underflow 0
		.amdhsa_exception_fp_ieee_inexact 0
		.amdhsa_exception_int_div_zero 0
	.end_amdhsa_kernel
	.section	.text._ZL22rocblas_geam_1D_deviceILi256EdPKPKdPKPdEvmT0_T1_llS7_S8_llT2_lli,"axG",@progbits,_ZL22rocblas_geam_1D_deviceILi256EdPKPKdPKPdEvmT0_T1_llS7_S8_llT2_lli,comdat
.Lfunc_end50:
	.size	_ZL22rocblas_geam_1D_deviceILi256EdPKPKdPKPdEvmT0_T1_llS7_S8_llT2_lli, .Lfunc_end50-_ZL22rocblas_geam_1D_deviceILi256EdPKPKdPKPdEvmT0_T1_llS7_S8_llT2_lli
                                        ; -- End function
	.section	.AMDGPU.csdata,"",@progbits
; Kernel info:
; codeLenInByte = 420
; NumSgprs: 30
; NumVgprs: 7
; NumAgprs: 0
; TotalNumVgprs: 7
; ScratchSize: 0
; MemoryBound: 0
; FloatMode: 240
; IeeeMode: 1
; LDSByteSize: 0 bytes/workgroup (compile time only)
; SGPRBlocks: 3
; VGPRBlocks: 0
; NumSGPRsForWavesPerEU: 30
; NumVGPRsForWavesPerEU: 7
; AccumOffset: 8
; Occupancy: 8
; WaveLimiterHint : 1
; COMPUTE_PGM_RSRC2:SCRATCH_EN: 0
; COMPUTE_PGM_RSRC2:USER_SGPR: 6
; COMPUTE_PGM_RSRC2:TRAP_HANDLER: 0
; COMPUTE_PGM_RSRC2:TGID_X_EN: 1
; COMPUTE_PGM_RSRC2:TGID_Y_EN: 0
; COMPUTE_PGM_RSRC2:TGID_Z_EN: 1
; COMPUTE_PGM_RSRC2:TIDIG_COMP_CNT: 0
; COMPUTE_PGM_RSRC3_GFX90A:ACCUM_OFFSET: 1
; COMPUTE_PGM_RSRC3_GFX90A:TG_SPLIT: 0
	.section	.text._ZL22rocblas_geam_1D_deviceILi256EPKdPKS1_PKPdEvmT0_T1_llS7_S8_llT2_lli,"axG",@progbits,_ZL22rocblas_geam_1D_deviceILi256EPKdPKS1_PKPdEvmT0_T1_llS7_S8_llT2_lli,comdat
	.globl	_ZL22rocblas_geam_1D_deviceILi256EPKdPKS1_PKPdEvmT0_T1_llS7_S8_llT2_lli ; -- Begin function _ZL22rocblas_geam_1D_deviceILi256EPKdPKS1_PKPdEvmT0_T1_llS7_S8_llT2_lli
	.p2align	8
	.type	_ZL22rocblas_geam_1D_deviceILi256EPKdPKS1_PKPdEvmT0_T1_llS7_S8_llT2_lli,@function
_ZL22rocblas_geam_1D_deviceILi256EPKdPKS1_PKPdEvmT0_T1_llS7_S8_llT2_lli: ; @_ZL22rocblas_geam_1D_deviceILi256EPKdPKS1_PKPdEvmT0_T1_llS7_S8_llT2_lli
; %bb.0:
	s_load_dword s0, s[4:5], 0x74
	s_load_dwordx8 s[8:15], s[4:5], 0x0
	v_mov_b32_e32 v1, 0
	v_mov_b32_e32 v2, s6
	s_waitcnt lgkmcnt(0)
	s_and_b32 s0, s0, 0xffff
	v_mad_u64_u32 v[0:1], s[0:1], s0, v2, v[0:1]
	v_cmp_gt_u64_e32 vcc, s[8:9], v[0:1]
	s_and_saveexec_b64 s[0:1], vcc
	s_cbranch_execz .LBB51_12
; %bb.1:
	s_mov_b32 s20, s7
	s_load_dwordx4 s[16:19], s[4:5], 0x28
	s_load_dwordx4 s[0:3], s[4:5], 0x48
	s_load_dwordx2 s[6:7], s[10:11], 0x0
	s_mov_b32 s21, 0
	s_lshl_b64 s[20:21], s[20:21], 3
	s_waitcnt lgkmcnt(0)
	s_load_dwordx2 s[8:9], s[16:17], 0x0
	s_add_u32 s0, s0, s20
	s_addc_u32 s1, s1, s21
	s_load_dwordx2 s[0:1], s[0:1], 0x0
	v_cmp_eq_f64_e64 s[16:17], s[6:7], 0
	s_waitcnt lgkmcnt(0)
	v_cmp_eq_f64_e64 s[24:25], s[8:9], 0
	s_and_b64 s[10:11], s[16:17], s[24:25]
	v_pk_mov_b32 v[2:3], 0, 0
	s_and_b64 vcc, exec, s[10:11]
	s_cbranch_vccnz .LBB51_11
; %bb.2:
	s_mov_b64 s[22:23], 0
	v_cmp_neq_f64_e64 s[10:11], s[6:7], 0
	s_and_b64 vcc, exec, s[16:17]
	s_mov_b64 s[16:17], 0
	s_cbranch_vccnz .LBB51_4
; %bb.3:
	s_add_u32 s12, s12, s20
	s_addc_u32 s13, s13, s21
	s_load_dwordx2 s[12:13], s[12:13], 0x0
	s_lshl_b64 s[14:15], s[14:15], 3
	s_waitcnt lgkmcnt(0)
	s_add_u32 s16, s12, s14
	s_addc_u32 s17, s13, s15
.LBB51_4:
	v_cmp_neq_f64_e64 s[12:13], s[8:9], 0
	s_and_b64 vcc, exec, s[24:25]
	s_cbranch_vccnz .LBB51_6
; %bb.5:
	s_add_u32 s14, s18, s20
	s_load_dwordx2 s[4:5], s[4:5], 0x38
	s_addc_u32 s15, s19, s21
	s_load_dwordx2 s[14:15], s[14:15], 0x0
	s_waitcnt lgkmcnt(0)
	s_lshl_b64 s[4:5], s[4:5], 3
	s_add_u32 s22, s14, s4
	s_addc_u32 s23, s15, s5
.LBB51_6:
	v_pk_mov_b32 v[2:3], 0, 0
	s_andn2_b64 vcc, exec, s[12:13]
	v_pk_mov_b32 v[4:5], v[2:3], v[2:3] op_sel:[0,1]
	s_cbranch_vccnz .LBB51_8
; %bb.7:
	v_lshlrev_b64 v[4:5], 3, v[0:1]
	v_mov_b32_e32 v6, s23
	v_add_co_u32_e32 v4, vcc, s22, v4
	v_addc_co_u32_e32 v5, vcc, v6, v5, vcc
	flat_load_dwordx2 v[4:5], v[4:5]
	s_waitcnt vmcnt(0) lgkmcnt(0)
	v_mul_f64 v[4:5], s[8:9], v[4:5]
.LBB51_8:
	s_andn2_b64 vcc, exec, s[10:11]
	s_cbranch_vccnz .LBB51_10
; %bb.9:
	v_lshlrev_b64 v[2:3], 3, v[0:1]
	v_mov_b32_e32 v6, s17
	v_add_co_u32_e32 v2, vcc, s16, v2
	v_addc_co_u32_e32 v3, vcc, v6, v3, vcc
	flat_load_dwordx2 v[2:3], v[2:3]
	s_waitcnt vmcnt(0) lgkmcnt(0)
	v_mul_f64 v[2:3], s[6:7], v[2:3]
.LBB51_10:
	v_add_f64 v[2:3], v[4:5], v[2:3]
.LBB51_11:
	s_lshl_b64 s[2:3], s[2:3], 3
	s_add_u32 s0, s0, s2
	s_addc_u32 s1, s1, s3
	v_lshlrev_b64 v[0:1], 3, v[0:1]
	v_mov_b32_e32 v4, s1
	v_add_co_u32_e32 v0, vcc, s0, v0
	v_addc_co_u32_e32 v1, vcc, v4, v1, vcc
	global_store_dwordx2 v[0:1], v[2:3], off
.LBB51_12:
	s_endpgm
	.section	.rodata,"a",@progbits
	.p2align	6, 0x0
	.amdhsa_kernel _ZL22rocblas_geam_1D_deviceILi256EPKdPKS1_PKPdEvmT0_T1_llS7_S8_llT2_lli
		.amdhsa_group_segment_fixed_size 0
		.amdhsa_private_segment_fixed_size 0
		.amdhsa_kernarg_size 360
		.amdhsa_user_sgpr_count 6
		.amdhsa_user_sgpr_private_segment_buffer 1
		.amdhsa_user_sgpr_dispatch_ptr 0
		.amdhsa_user_sgpr_queue_ptr 0
		.amdhsa_user_sgpr_kernarg_segment_ptr 1
		.amdhsa_user_sgpr_dispatch_id 0
		.amdhsa_user_sgpr_flat_scratch_init 0
		.amdhsa_user_sgpr_kernarg_preload_length 0
		.amdhsa_user_sgpr_kernarg_preload_offset 0
		.amdhsa_user_sgpr_private_segment_size 0
		.amdhsa_uses_dynamic_stack 0
		.amdhsa_system_sgpr_private_segment_wavefront_offset 0
		.amdhsa_system_sgpr_workgroup_id_x 1
		.amdhsa_system_sgpr_workgroup_id_y 0
		.amdhsa_system_sgpr_workgroup_id_z 1
		.amdhsa_system_sgpr_workgroup_info 0
		.amdhsa_system_vgpr_workitem_id 0
		.amdhsa_next_free_vgpr 7
		.amdhsa_next_free_sgpr 26
		.amdhsa_accum_offset 8
		.amdhsa_reserve_vcc 1
		.amdhsa_reserve_flat_scratch 0
		.amdhsa_float_round_mode_32 0
		.amdhsa_float_round_mode_16_64 0
		.amdhsa_float_denorm_mode_32 3
		.amdhsa_float_denorm_mode_16_64 3
		.amdhsa_dx10_clamp 1
		.amdhsa_ieee_mode 1
		.amdhsa_fp16_overflow 0
		.amdhsa_tg_split 0
		.amdhsa_exception_fp_ieee_invalid_op 0
		.amdhsa_exception_fp_denorm_src 0
		.amdhsa_exception_fp_ieee_div_zero 0
		.amdhsa_exception_fp_ieee_overflow 0
		.amdhsa_exception_fp_ieee_underflow 0
		.amdhsa_exception_fp_ieee_inexact 0
		.amdhsa_exception_int_div_zero 0
	.end_amdhsa_kernel
	.section	.text._ZL22rocblas_geam_1D_deviceILi256EPKdPKS1_PKPdEvmT0_T1_llS7_S8_llT2_lli,"axG",@progbits,_ZL22rocblas_geam_1D_deviceILi256EPKdPKS1_PKPdEvmT0_T1_llS7_S8_llT2_lli,comdat
.Lfunc_end51:
	.size	_ZL22rocblas_geam_1D_deviceILi256EPKdPKS1_PKPdEvmT0_T1_llS7_S8_llT2_lli, .Lfunc_end51-_ZL22rocblas_geam_1D_deviceILi256EPKdPKS1_PKPdEvmT0_T1_llS7_S8_llT2_lli
                                        ; -- End function
	.section	.AMDGPU.csdata,"",@progbits
; Kernel info:
; codeLenInByte = 436
; NumSgprs: 30
; NumVgprs: 7
; NumAgprs: 0
; TotalNumVgprs: 7
; ScratchSize: 0
; MemoryBound: 0
; FloatMode: 240
; IeeeMode: 1
; LDSByteSize: 0 bytes/workgroup (compile time only)
; SGPRBlocks: 3
; VGPRBlocks: 0
; NumSGPRsForWavesPerEU: 30
; NumVGPRsForWavesPerEU: 7
; AccumOffset: 8
; Occupancy: 8
; WaveLimiterHint : 1
; COMPUTE_PGM_RSRC2:SCRATCH_EN: 0
; COMPUTE_PGM_RSRC2:USER_SGPR: 6
; COMPUTE_PGM_RSRC2:TRAP_HANDLER: 0
; COMPUTE_PGM_RSRC2:TGID_X_EN: 1
; COMPUTE_PGM_RSRC2:TGID_Y_EN: 0
; COMPUTE_PGM_RSRC2:TGID_Z_EN: 1
; COMPUTE_PGM_RSRC2:TIDIG_COMP_CNT: 0
; COMPUTE_PGM_RSRC3_GFX90A:ACCUM_OFFSET: 1
; COMPUTE_PGM_RSRC3_GFX90A:TG_SPLIT: 0
	.section	.text._ZL19rocblas_geam_deviceILi16ELi16EdPKPKdPKPdEv18rocblas_operation_S7_iiT1_T2_lllS8_S9_lllT3_llli,"axG",@progbits,_ZL19rocblas_geam_deviceILi16ELi16EdPKPKdPKPdEv18rocblas_operation_S7_iiT1_T2_lllS8_S9_lllT3_llli,comdat
	.globl	_ZL19rocblas_geam_deviceILi16ELi16EdPKPKdPKPdEv18rocblas_operation_S7_iiT1_T2_lllS8_S9_lllT3_llli ; -- Begin function _ZL19rocblas_geam_deviceILi16ELi16EdPKPKdPKPdEv18rocblas_operation_S7_iiT1_T2_lllS8_S9_lllT3_llli
	.p2align	8
	.type	_ZL19rocblas_geam_deviceILi16ELi16EdPKPKdPKPdEv18rocblas_operation_S7_iiT1_T2_lllS8_S9_lllT3_llli,@function
_ZL19rocblas_geam_deviceILi16ELi16EdPKPKdPKPdEv18rocblas_operation_S7_iiT1_T2_lllS8_S9_lllT3_llli: ; @_ZL19rocblas_geam_deviceILi16ELi16EdPKPKdPKPdEv18rocblas_operation_S7_iiT1_T2_lllS8_S9_lllT3_llli
; %bb.0:
	s_load_dwordx4 s[24:27], s[4:5], 0x0
	s_mov_b32 s28, s7
	v_and_b32_e32 v2, 0x3ff, v0
	v_bfe_u32 v0, v0, 10, 10
	s_waitcnt lgkmcnt(0)
	s_add_i32 s0, s26, -1
	s_ashr_i32 s1, s0, 31
	s_lshr_b32 s1, s1, 28
	s_add_i32 s0, s0, s1
	s_ashr_i32 s0, s0, 4
	s_add_i32 s1, s0, 1
	v_cvt_f32_u32_e32 v1, s1
	s_not_b32 s0, s0
	v_rcp_iflag_f32_e32 v1, v1
	v_mul_f32_e32 v1, 0x4f7ffffe, v1
	v_cvt_u32_f32_e32 v1, v1
	v_readfirstlane_b32 s2, v1
	s_mul_i32 s0, s0, s2
	s_mul_hi_u32 s0, s2, s0
	s_add_i32 s2, s2, s0
	s_mul_hi_u32 s0, s6, s2
	s_mul_i32 s2, s0, s1
	s_sub_i32 s2, s6, s2
	s_add_i32 s3, s0, 1
	s_sub_i32 s7, s2, s1
	s_cmp_ge_u32 s2, s1
	s_cselect_b32 s0, s3, s0
	s_cselect_b32 s2, s7, s2
	s_add_i32 s3, s0, 1
	s_cmp_ge_u32 s2, s1
	s_cselect_b32 s0, s3, s0
	s_mul_i32 s1, s0, s1
	v_lshl_add_u32 v6, s0, 4, v0
	s_sub_i32 s0, s6, s1
	v_lshl_add_u32 v0, s0, 4, v2
	v_cmp_gt_i32_e32 vcc, s26, v0
	v_cmp_gt_i32_e64 s[0:1], s27, v6
	s_and_b64 s[0:1], vcc, s[0:1]
	s_and_saveexec_b64 s[2:3], s[0:1]
	s_cbranch_execz .LBB52_12
; %bb.1:
	s_load_dwordx8 s[8:15], s[4:5], 0x10
	s_mov_b64 s[0:1], 0
	s_waitcnt lgkmcnt(0)
	v_cmp_neq_f64_e64 s[6:7], s[8:9], 0
	s_and_b64 vcc, exec, s[6:7]
	s_cbranch_vccnz .LBB52_3
; %bb.2:
	s_mov_b32 s29, 0
	s_mov_b64 s[26:27], 0
	s_andn2_b64 vcc, exec, s[0:1]
	s_cbranch_vccz .LBB52_4
	s_branch .LBB52_5
.LBB52_3:
                                        ; implicit-def: $sgpr26_sgpr27
.LBB52_4:
	s_mov_b32 s29, 0
	s_lshl_b64 s[0:1], s[28:29], 3
	s_add_u32 s0, s10, s0
	s_addc_u32 s1, s11, s1
	s_load_dwordx2 s[0:1], s[0:1], 0x0
	s_lshl_b64 s[2:3], s[12:13], 3
	s_waitcnt lgkmcnt(0)
	s_add_u32 s26, s0, s2
	s_addc_u32 s27, s1, s3
.LBB52_5:
	s_load_dwordx8 s[16:23], s[4:5], 0x38
	s_mov_b64 s[12:13], 0
	s_waitcnt lgkmcnt(0)
	v_cmp_eq_f64_e64 s[0:1], s[16:17], 0
	v_cmp_neq_f64_e64 s[30:31], s[16:17], 0
	s_and_b64 vcc, exec, s[0:1]
	s_cbranch_vccnz .LBB52_7
; %bb.6:
	s_lshl_b64 s[0:1], s[28:29], 3
	s_add_u32 s0, s18, s0
	s_addc_u32 s1, s19, s1
	s_load_dwordx2 s[0:1], s[0:1], 0x0
	s_lshl_b64 s[2:3], s[20:21], 3
	s_waitcnt lgkmcnt(0)
	s_add_u32 s12, s0, s2
	s_addc_u32 s13, s1, s3
.LBB52_7:
	s_load_dwordx4 s[0:3], s[4:5], 0x60
	s_load_dwordx2 s[10:11], s[4:5], 0x70
	s_lshl_b64 s[4:5], s[28:29], 3
	v_pk_mov_b32 v[4:5], 0, 0
	v_ashrrev_i32_e32 v1, 31, v0
	s_waitcnt lgkmcnt(0)
	s_add_u32 s0, s0, s4
	s_addc_u32 s1, s1, s5
	s_load_dwordx2 s[0:1], s[0:1], 0x0
	v_ashrrev_i32_e32 v7, 31, v6
	s_andn2_b64 vcc, exec, s[6:7]
	v_pk_mov_b32 v[2:3], v[4:5], v[4:5] op_sel:[0,1]
	s_cbranch_vccnz .LBB52_9
; %bb.8:
	s_cmpk_eq_i32 s24, 0x6f
	s_cselect_b64 vcc, -1, 0
	v_cndmask_b32_e32 v8, v1, v7, vcc
	v_cndmask_b32_e32 v9, v0, v6, vcc
	;; [unrolled: 1-line block ×4, first 2 shown]
	v_mad_u64_u32 v[2:3], s[4:5], v9, s14, v[2:3]
	v_mul_lo_u32 v9, v9, s15
	v_mul_lo_u32 v8, v8, s14
	v_add3_u32 v3, v8, v3, v9
	v_lshlrev_b64 v[2:3], 3, v[2:3]
	v_mov_b32_e32 v8, s27
	v_add_co_u32_e32 v2, vcc, s26, v2
	v_addc_co_u32_e32 v3, vcc, v8, v3, vcc
	flat_load_dwordx2 v[2:3], v[2:3]
.LBB52_9:
	s_andn2_b64 vcc, exec, s[30:31]
	s_cbranch_vccnz .LBB52_11
; %bb.10:
	s_cmpk_eq_i32 s25, 0x6f
	s_cselect_b64 vcc, -1, 0
	v_cndmask_b32_e32 v8, v1, v7, vcc
	v_cndmask_b32_e32 v9, v0, v6, vcc
	;; [unrolled: 1-line block ×4, first 2 shown]
	v_mad_u64_u32 v[4:5], s[4:5], v9, s22, v[4:5]
	v_mul_lo_u32 v9, v9, s23
	v_mul_lo_u32 v8, v8, s22
	v_add3_u32 v5, v8, v5, v9
	v_lshlrev_b64 v[4:5], 3, v[4:5]
	v_mov_b32_e32 v8, s13
	v_add_co_u32_e32 v4, vcc, s12, v4
	v_addc_co_u32_e32 v5, vcc, v8, v5, vcc
	flat_load_dwordx2 v[4:5], v[4:5]
.LBB52_11:
	s_lshl_b64 s[2:3], s[2:3], 3
	s_waitcnt lgkmcnt(0)
	s_add_u32 s2, s0, s2
	s_addc_u32 s3, s1, s3
	v_mul_lo_u32 v8, v7, s10
	v_mul_lo_u32 v9, v6, s11
	v_mad_u64_u32 v[6:7], s[0:1], v6, s10, 0
	v_add3_u32 v7, v7, v9, v8
	s_waitcnt vmcnt(0)
	v_mul_f64 v[4:5], v[4:5], s[16:17]
	v_fmac_f64_e32 v[4:5], s[8:9], v[2:3]
	v_lshlrev_b64 v[2:3], 3, v[6:7]
	v_mov_b32_e32 v6, s3
	v_add_co_u32_e32 v2, vcc, s2, v2
	v_addc_co_u32_e32 v3, vcc, v6, v3, vcc
	v_lshlrev_b64 v[0:1], 3, v[0:1]
	v_add_co_u32_e32 v0, vcc, v2, v0
	v_addc_co_u32_e32 v1, vcc, v3, v1, vcc
	global_store_dwordx2 v[0:1], v[4:5], off
.LBB52_12:
	s_endpgm
	.section	.rodata,"a",@progbits
	.p2align	6, 0x0
	.amdhsa_kernel _ZL19rocblas_geam_deviceILi16ELi16EdPKPKdPKPdEv18rocblas_operation_S7_iiT1_T2_lllS8_S9_lllT3_llli
		.amdhsa_group_segment_fixed_size 0
		.amdhsa_private_segment_fixed_size 0
		.amdhsa_kernarg_size 132
		.amdhsa_user_sgpr_count 6
		.amdhsa_user_sgpr_private_segment_buffer 1
		.amdhsa_user_sgpr_dispatch_ptr 0
		.amdhsa_user_sgpr_queue_ptr 0
		.amdhsa_user_sgpr_kernarg_segment_ptr 1
		.amdhsa_user_sgpr_dispatch_id 0
		.amdhsa_user_sgpr_flat_scratch_init 0
		.amdhsa_user_sgpr_kernarg_preload_length 0
		.amdhsa_user_sgpr_kernarg_preload_offset 0
		.amdhsa_user_sgpr_private_segment_size 0
		.amdhsa_uses_dynamic_stack 0
		.amdhsa_system_sgpr_private_segment_wavefront_offset 0
		.amdhsa_system_sgpr_workgroup_id_x 1
		.amdhsa_system_sgpr_workgroup_id_y 0
		.amdhsa_system_sgpr_workgroup_id_z 1
		.amdhsa_system_sgpr_workgroup_info 0
		.amdhsa_system_vgpr_workitem_id 1
		.amdhsa_next_free_vgpr 10
		.amdhsa_next_free_sgpr 32
		.amdhsa_accum_offset 12
		.amdhsa_reserve_vcc 1
		.amdhsa_reserve_flat_scratch 0
		.amdhsa_float_round_mode_32 0
		.amdhsa_float_round_mode_16_64 0
		.amdhsa_float_denorm_mode_32 3
		.amdhsa_float_denorm_mode_16_64 3
		.amdhsa_dx10_clamp 1
		.amdhsa_ieee_mode 1
		.amdhsa_fp16_overflow 0
		.amdhsa_tg_split 0
		.amdhsa_exception_fp_ieee_invalid_op 0
		.amdhsa_exception_fp_denorm_src 0
		.amdhsa_exception_fp_ieee_div_zero 0
		.amdhsa_exception_fp_ieee_overflow 0
		.amdhsa_exception_fp_ieee_underflow 0
		.amdhsa_exception_fp_ieee_inexact 0
		.amdhsa_exception_int_div_zero 0
	.end_amdhsa_kernel
	.section	.text._ZL19rocblas_geam_deviceILi16ELi16EdPKPKdPKPdEv18rocblas_operation_S7_iiT1_T2_lllS8_S9_lllT3_llli,"axG",@progbits,_ZL19rocblas_geam_deviceILi16ELi16EdPKPKdPKPdEv18rocblas_operation_S7_iiT1_T2_lllS8_S9_lllT3_llli,comdat
.Lfunc_end52:
	.size	_ZL19rocblas_geam_deviceILi16ELi16EdPKPKdPKPdEv18rocblas_operation_S7_iiT1_T2_lllS8_S9_lllT3_llli, .Lfunc_end52-_ZL19rocblas_geam_deviceILi16ELi16EdPKPKdPKPdEv18rocblas_operation_S7_iiT1_T2_lllS8_S9_lllT3_llli
                                        ; -- End function
	.section	.AMDGPU.csdata,"",@progbits
; Kernel info:
; codeLenInByte = 716
; NumSgprs: 36
; NumVgprs: 10
; NumAgprs: 0
; TotalNumVgprs: 10
; ScratchSize: 0
; MemoryBound: 0
; FloatMode: 240
; IeeeMode: 1
; LDSByteSize: 0 bytes/workgroup (compile time only)
; SGPRBlocks: 4
; VGPRBlocks: 1
; NumSGPRsForWavesPerEU: 36
; NumVGPRsForWavesPerEU: 10
; AccumOffset: 12
; Occupancy: 8
; WaveLimiterHint : 1
; COMPUTE_PGM_RSRC2:SCRATCH_EN: 0
; COMPUTE_PGM_RSRC2:USER_SGPR: 6
; COMPUTE_PGM_RSRC2:TRAP_HANDLER: 0
; COMPUTE_PGM_RSRC2:TGID_X_EN: 1
; COMPUTE_PGM_RSRC2:TGID_Y_EN: 0
; COMPUTE_PGM_RSRC2:TGID_Z_EN: 1
; COMPUTE_PGM_RSRC2:TIDIG_COMP_CNT: 1
; COMPUTE_PGM_RSRC3_GFX90A:ACCUM_OFFSET: 2
; COMPUTE_PGM_RSRC3_GFX90A:TG_SPLIT: 0
	.section	.text._ZL19rocblas_geam_deviceILi16ELi16EPKdPKS1_PKPdEv18rocblas_operation_S7_iiT1_T2_lllS8_S9_lllT3_llli,"axG",@progbits,_ZL19rocblas_geam_deviceILi16ELi16EPKdPKS1_PKPdEv18rocblas_operation_S7_iiT1_T2_lllS8_S9_lllT3_llli,comdat
	.globl	_ZL19rocblas_geam_deviceILi16ELi16EPKdPKS1_PKPdEv18rocblas_operation_S7_iiT1_T2_lllS8_S9_lllT3_llli ; -- Begin function _ZL19rocblas_geam_deviceILi16ELi16EPKdPKS1_PKPdEv18rocblas_operation_S7_iiT1_T2_lllS8_S9_lllT3_llli
	.p2align	8
	.type	_ZL19rocblas_geam_deviceILi16ELi16EPKdPKS1_PKPdEv18rocblas_operation_S7_iiT1_T2_lllS8_S9_lllT3_llli,@function
_ZL19rocblas_geam_deviceILi16ELi16EPKdPKS1_PKPdEv18rocblas_operation_S7_iiT1_T2_lllS8_S9_lllT3_llli: ; @_ZL19rocblas_geam_deviceILi16ELi16EPKdPKS1_PKPdEv18rocblas_operation_S7_iiT1_T2_lllS8_S9_lllT3_llli
; %bb.0:
	s_load_dwordx4 s[24:27], s[4:5], 0x0
	s_mov_b32 s28, s7
	v_and_b32_e32 v2, 0x3ff, v0
	v_bfe_u32 v0, v0, 10, 10
	s_waitcnt lgkmcnt(0)
	s_add_i32 s0, s26, -1
	s_ashr_i32 s1, s0, 31
	s_lshr_b32 s1, s1, 28
	s_add_i32 s0, s0, s1
	s_ashr_i32 s0, s0, 4
	s_add_i32 s1, s0, 1
	v_cvt_f32_u32_e32 v1, s1
	s_not_b32 s0, s0
	v_rcp_iflag_f32_e32 v1, v1
	v_mul_f32_e32 v1, 0x4f7ffffe, v1
	v_cvt_u32_f32_e32 v1, v1
	v_readfirstlane_b32 s2, v1
	s_mul_i32 s0, s0, s2
	s_mul_hi_u32 s0, s2, s0
	s_add_i32 s2, s2, s0
	s_mul_hi_u32 s0, s6, s2
	s_mul_i32 s2, s0, s1
	s_sub_i32 s2, s6, s2
	s_add_i32 s3, s0, 1
	s_sub_i32 s7, s2, s1
	s_cmp_ge_u32 s2, s1
	s_cselect_b32 s0, s3, s0
	s_cselect_b32 s2, s7, s2
	s_add_i32 s3, s0, 1
	s_cmp_ge_u32 s2, s1
	s_cselect_b32 s0, s3, s0
	s_mul_i32 s1, s0, s1
	v_lshl_add_u32 v6, s0, 4, v0
	s_sub_i32 s0, s6, s1
	v_lshl_add_u32 v0, s0, 4, v2
	v_cmp_gt_i32_e32 vcc, s26, v0
	v_cmp_gt_i32_e64 s[0:1], s27, v6
	s_and_b64 s[0:1], vcc, s[0:1]
	s_and_saveexec_b64 s[2:3], s[0:1]
	s_cbranch_execz .LBB53_12
; %bb.1:
	s_load_dwordx8 s[16:23], s[4:5], 0x10
	s_mov_b64 s[0:1], 0
	s_waitcnt lgkmcnt(0)
	s_load_dwordx2 s[6:7], s[16:17], 0x0
	s_load_dwordx8 s[8:15], s[4:5], 0x38
	s_waitcnt lgkmcnt(0)
	v_cmp_neq_f64_e64 s[16:17], s[6:7], 0
	s_and_b64 vcc, exec, s[16:17]
	s_cbranch_vccnz .LBB53_3
; %bb.2:
	s_mov_b32 s29, 0
	s_mov_b64 s[26:27], 0
	s_load_dwordx2 s[8:9], s[8:9], 0x0
	s_andn2_b64 vcc, exec, s[0:1]
	s_cbranch_vccz .LBB53_4
	s_branch .LBB53_5
.LBB53_3:
                                        ; implicit-def: $sgpr26_sgpr27
	s_load_dwordx2 s[8:9], s[8:9], 0x0
.LBB53_4:
	s_mov_b32 s29, 0
	s_lshl_b64 s[0:1], s[28:29], 3
	s_add_u32 s0, s18, s0
	s_addc_u32 s1, s19, s1
	s_load_dwordx2 s[0:1], s[0:1], 0x0
	s_lshl_b64 s[2:3], s[20:21], 3
	s_waitcnt lgkmcnt(0)
	s_add_u32 s26, s0, s2
	s_addc_u32 s27, s1, s3
.LBB53_5:
	s_waitcnt lgkmcnt(0)
	v_cmp_eq_f64_e64 s[0:1], s[8:9], 0
	s_mov_b64 s[18:19], 0
	v_cmp_neq_f64_e64 s[20:21], s[8:9], 0
	s_and_b64 vcc, exec, s[0:1]
	s_cbranch_vccnz .LBB53_7
; %bb.6:
	s_lshl_b64 s[0:1], s[28:29], 3
	s_add_u32 s0, s10, s0
	s_addc_u32 s1, s11, s1
	s_load_dwordx2 s[0:1], s[0:1], 0x0
	s_lshl_b64 s[2:3], s[12:13], 3
	s_waitcnt lgkmcnt(0)
	s_add_u32 s18, s0, s2
	s_addc_u32 s19, s1, s3
.LBB53_7:
	s_load_dwordx4 s[0:3], s[4:5], 0x60
	s_load_dwordx2 s[10:11], s[4:5], 0x70
	s_lshl_b64 s[4:5], s[28:29], 3
	v_pk_mov_b32 v[4:5], 0, 0
	v_ashrrev_i32_e32 v1, 31, v0
	s_waitcnt lgkmcnt(0)
	s_add_u32 s0, s0, s4
	s_addc_u32 s1, s1, s5
	s_load_dwordx2 s[0:1], s[0:1], 0x0
	v_ashrrev_i32_e32 v7, 31, v6
	s_andn2_b64 vcc, exec, s[16:17]
	v_pk_mov_b32 v[2:3], v[4:5], v[4:5] op_sel:[0,1]
	s_cbranch_vccnz .LBB53_9
; %bb.8:
	s_cmpk_eq_i32 s24, 0x6f
	s_cselect_b64 vcc, -1, 0
	v_cndmask_b32_e32 v8, v1, v7, vcc
	v_cndmask_b32_e32 v9, v0, v6, vcc
	;; [unrolled: 1-line block ×4, first 2 shown]
	v_mad_u64_u32 v[2:3], s[4:5], v9, s22, v[2:3]
	v_mul_lo_u32 v9, v9, s23
	v_mul_lo_u32 v8, v8, s22
	v_add3_u32 v3, v8, v3, v9
	v_lshlrev_b64 v[2:3], 3, v[2:3]
	v_mov_b32_e32 v8, s27
	v_add_co_u32_e32 v2, vcc, s26, v2
	v_addc_co_u32_e32 v3, vcc, v8, v3, vcc
	flat_load_dwordx2 v[2:3], v[2:3]
.LBB53_9:
	s_andn2_b64 vcc, exec, s[20:21]
	s_cbranch_vccnz .LBB53_11
; %bb.10:
	s_cmpk_eq_i32 s25, 0x6f
	s_cselect_b64 vcc, -1, 0
	v_cndmask_b32_e32 v8, v1, v7, vcc
	v_cndmask_b32_e32 v9, v0, v6, vcc
	;; [unrolled: 1-line block ×4, first 2 shown]
	v_mad_u64_u32 v[4:5], s[4:5], v9, s14, v[4:5]
	v_mul_lo_u32 v9, v9, s15
	v_mul_lo_u32 v8, v8, s14
	v_add3_u32 v5, v8, v5, v9
	v_lshlrev_b64 v[4:5], 3, v[4:5]
	v_mov_b32_e32 v8, s19
	v_add_co_u32_e32 v4, vcc, s18, v4
	v_addc_co_u32_e32 v5, vcc, v8, v5, vcc
	flat_load_dwordx2 v[4:5], v[4:5]
.LBB53_11:
	s_lshl_b64 s[2:3], s[2:3], 3
	s_waitcnt lgkmcnt(0)
	s_add_u32 s2, s0, s2
	s_addc_u32 s3, s1, s3
	v_mul_lo_u32 v8, v7, s10
	v_mul_lo_u32 v9, v6, s11
	v_mad_u64_u32 v[6:7], s[0:1], v6, s10, 0
	v_add3_u32 v7, v7, v9, v8
	s_waitcnt vmcnt(0)
	v_mul_f64 v[4:5], s[8:9], v[4:5]
	v_fmac_f64_e32 v[4:5], s[6:7], v[2:3]
	v_lshlrev_b64 v[2:3], 3, v[6:7]
	v_mov_b32_e32 v6, s3
	v_add_co_u32_e32 v2, vcc, s2, v2
	v_addc_co_u32_e32 v3, vcc, v6, v3, vcc
	v_lshlrev_b64 v[0:1], 3, v[0:1]
	v_add_co_u32_e32 v0, vcc, v2, v0
	v_addc_co_u32_e32 v1, vcc, v3, v1, vcc
	global_store_dwordx2 v[0:1], v[4:5], off
.LBB53_12:
	s_endpgm
	.section	.rodata,"a",@progbits
	.p2align	6, 0x0
	.amdhsa_kernel _ZL19rocblas_geam_deviceILi16ELi16EPKdPKS1_PKPdEv18rocblas_operation_S7_iiT1_T2_lllS8_S9_lllT3_llli
		.amdhsa_group_segment_fixed_size 0
		.amdhsa_private_segment_fixed_size 0
		.amdhsa_kernarg_size 132
		.amdhsa_user_sgpr_count 6
		.amdhsa_user_sgpr_private_segment_buffer 1
		.amdhsa_user_sgpr_dispatch_ptr 0
		.amdhsa_user_sgpr_queue_ptr 0
		.amdhsa_user_sgpr_kernarg_segment_ptr 1
		.amdhsa_user_sgpr_dispatch_id 0
		.amdhsa_user_sgpr_flat_scratch_init 0
		.amdhsa_user_sgpr_kernarg_preload_length 0
		.amdhsa_user_sgpr_kernarg_preload_offset 0
		.amdhsa_user_sgpr_private_segment_size 0
		.amdhsa_uses_dynamic_stack 0
		.amdhsa_system_sgpr_private_segment_wavefront_offset 0
		.amdhsa_system_sgpr_workgroup_id_x 1
		.amdhsa_system_sgpr_workgroup_id_y 0
		.amdhsa_system_sgpr_workgroup_id_z 1
		.amdhsa_system_sgpr_workgroup_info 0
		.amdhsa_system_vgpr_workitem_id 1
		.amdhsa_next_free_vgpr 10
		.amdhsa_next_free_sgpr 30
		.amdhsa_accum_offset 12
		.amdhsa_reserve_vcc 1
		.amdhsa_reserve_flat_scratch 0
		.amdhsa_float_round_mode_32 0
		.amdhsa_float_round_mode_16_64 0
		.amdhsa_float_denorm_mode_32 3
		.amdhsa_float_denorm_mode_16_64 3
		.amdhsa_dx10_clamp 1
		.amdhsa_ieee_mode 1
		.amdhsa_fp16_overflow 0
		.amdhsa_tg_split 0
		.amdhsa_exception_fp_ieee_invalid_op 0
		.amdhsa_exception_fp_denorm_src 0
		.amdhsa_exception_fp_ieee_div_zero 0
		.amdhsa_exception_fp_ieee_overflow 0
		.amdhsa_exception_fp_ieee_underflow 0
		.amdhsa_exception_fp_ieee_inexact 0
		.amdhsa_exception_int_div_zero 0
	.end_amdhsa_kernel
	.section	.text._ZL19rocblas_geam_deviceILi16ELi16EPKdPKS1_PKPdEv18rocblas_operation_S7_iiT1_T2_lllS8_S9_lllT3_llli,"axG",@progbits,_ZL19rocblas_geam_deviceILi16ELi16EPKdPKS1_PKPdEv18rocblas_operation_S7_iiT1_T2_lllS8_S9_lllT3_llli,comdat
.Lfunc_end53:
	.size	_ZL19rocblas_geam_deviceILi16ELi16EPKdPKS1_PKPdEv18rocblas_operation_S7_iiT1_T2_lllS8_S9_lllT3_llli, .Lfunc_end53-_ZL19rocblas_geam_deviceILi16ELi16EPKdPKS1_PKPdEv18rocblas_operation_S7_iiT1_T2_lllS8_S9_lllT3_llli
                                        ; -- End function
	.section	.AMDGPU.csdata,"",@progbits
; Kernel info:
; codeLenInByte = 744
; NumSgprs: 34
; NumVgprs: 10
; NumAgprs: 0
; TotalNumVgprs: 10
; ScratchSize: 0
; MemoryBound: 0
; FloatMode: 240
; IeeeMode: 1
; LDSByteSize: 0 bytes/workgroup (compile time only)
; SGPRBlocks: 4
; VGPRBlocks: 1
; NumSGPRsForWavesPerEU: 34
; NumVGPRsForWavesPerEU: 10
; AccumOffset: 12
; Occupancy: 8
; WaveLimiterHint : 1
; COMPUTE_PGM_RSRC2:SCRATCH_EN: 0
; COMPUTE_PGM_RSRC2:USER_SGPR: 6
; COMPUTE_PGM_RSRC2:TRAP_HANDLER: 0
; COMPUTE_PGM_RSRC2:TGID_X_EN: 1
; COMPUTE_PGM_RSRC2:TGID_Y_EN: 0
; COMPUTE_PGM_RSRC2:TGID_Z_EN: 1
; COMPUTE_PGM_RSRC2:TIDIG_COMP_CNT: 1
; COMPUTE_PGM_RSRC3_GFX90A:ACCUM_OFFSET: 2
; COMPUTE_PGM_RSRC3_GFX90A:TG_SPLIT: 0
	.section	.text._ZL31rocblas_geam_zero_matrix_deviceILi16ELi16EPKP19rocblas_complex_numIfEEviiT1_llli,"axG",@progbits,_ZL31rocblas_geam_zero_matrix_deviceILi16ELi16EPKP19rocblas_complex_numIfEEviiT1_llli,comdat
	.globl	_ZL31rocblas_geam_zero_matrix_deviceILi16ELi16EPKP19rocblas_complex_numIfEEviiT1_llli ; -- Begin function _ZL31rocblas_geam_zero_matrix_deviceILi16ELi16EPKP19rocblas_complex_numIfEEviiT1_llli
	.p2align	8
	.type	_ZL31rocblas_geam_zero_matrix_deviceILi16ELi16EPKP19rocblas_complex_numIfEEviiT1_llli,@function
_ZL31rocblas_geam_zero_matrix_deviceILi16ELi16EPKP19rocblas_complex_numIfEEviiT1_llli: ; @_ZL31rocblas_geam_zero_matrix_deviceILi16ELi16EPKP19rocblas_complex_numIfEEviiT1_llli
; %bb.0:
	s_load_dwordx2 s[0:1], s[4:5], 0x0
	s_mov_b32 s2, s7
	v_and_b32_e32 v3, 0x3ff, v0
	v_bfe_u32 v0, v0, 10, 10
	s_waitcnt lgkmcnt(0)
	s_add_i32 s3, s0, -1
	s_ashr_i32 s7, s3, 31
	s_lshr_b32 s7, s7, 28
	s_add_i32 s3, s3, s7
	s_ashr_i32 s3, s3, 4
	s_add_i32 s7, s3, 1
	v_cvt_f32_u32_e32 v1, s7
	s_not_b32 s3, s3
	v_rcp_iflag_f32_e32 v1, v1
	v_mul_f32_e32 v1, 0x4f7ffffe, v1
	v_cvt_u32_f32_e32 v1, v1
	v_readfirstlane_b32 s8, v1
	s_mul_i32 s3, s3, s8
	s_mul_hi_u32 s3, s8, s3
	s_add_i32 s8, s8, s3
	s_mul_hi_u32 s3, s6, s8
	s_mul_i32 s8, s3, s7
	s_sub_i32 s8, s6, s8
	s_add_i32 s9, s3, 1
	s_sub_i32 s10, s8, s7
	s_cmp_ge_u32 s8, s7
	s_cselect_b32 s3, s9, s3
	s_cselect_b32 s8, s10, s8
	s_add_i32 s9, s3, 1
	s_cmp_ge_u32 s8, s7
	s_cselect_b32 s3, s9, s3
	s_mul_i32 s7, s3, s7
	v_lshl_add_u32 v2, s3, 4, v0
	s_sub_i32 s3, s6, s7
	v_lshl_add_u32 v0, s3, 4, v3
	v_cmp_gt_i32_e32 vcc, s0, v0
	v_cmp_gt_i32_e64 s[0:1], s1, v2
	s_and_b64 s[0:1], vcc, s[0:1]
	s_and_saveexec_b64 s[6:7], s[0:1]
	s_cbranch_execz .LBB54_2
; %bb.1:
	s_load_dwordx4 s[8:11], s[4:5], 0x8
	s_load_dwordx2 s[0:1], s[4:5], 0x18
	s_mov_b32 s3, 0
	s_lshl_b64 s[2:3], s[2:3], 3
	v_ashrrev_i32_e32 v3, 31, v2
	s_waitcnt lgkmcnt(0)
	s_add_u32 s2, s8, s2
	s_addc_u32 s3, s9, s3
	s_load_dwordx2 s[2:3], s[2:3], 0x0
	v_mul_lo_u32 v4, v2, s1
	v_mul_lo_u32 v5, v3, s0
	s_lshl_b64 s[4:5], s[10:11], 3
	v_mad_u64_u32 v[2:3], s[0:1], v2, s0, 0
	s_waitcnt lgkmcnt(0)
	s_add_u32 s2, s2, s4
	v_add3_u32 v3, v3, v4, v5
	s_addc_u32 s3, s3, s5
	v_lshlrev_b64 v[2:3], 3, v[2:3]
	v_ashrrev_i32_e32 v1, 31, v0
	v_mov_b32_e32 v4, s3
	v_add_co_u32_e32 v2, vcc, s2, v2
	v_addc_co_u32_e32 v3, vcc, v4, v3, vcc
	v_lshlrev_b64 v[0:1], 3, v[0:1]
	v_add_co_u32_e32 v0, vcc, v2, v0
	v_mov_b32_e32 v2, 0
	v_addc_co_u32_e32 v1, vcc, v3, v1, vcc
	v_mov_b32_e32 v3, v2
	global_store_dwordx2 v[0:1], v[2:3], off
.LBB54_2:
	s_endpgm
	.section	.rodata,"a",@progbits
	.p2align	6, 0x0
	.amdhsa_kernel _ZL31rocblas_geam_zero_matrix_deviceILi16ELi16EPKP19rocblas_complex_numIfEEviiT1_llli
		.amdhsa_group_segment_fixed_size 0
		.amdhsa_private_segment_fixed_size 0
		.amdhsa_kernarg_size 44
		.amdhsa_user_sgpr_count 6
		.amdhsa_user_sgpr_private_segment_buffer 1
		.amdhsa_user_sgpr_dispatch_ptr 0
		.amdhsa_user_sgpr_queue_ptr 0
		.amdhsa_user_sgpr_kernarg_segment_ptr 1
		.amdhsa_user_sgpr_dispatch_id 0
		.amdhsa_user_sgpr_flat_scratch_init 0
		.amdhsa_user_sgpr_kernarg_preload_length 0
		.amdhsa_user_sgpr_kernarg_preload_offset 0
		.amdhsa_user_sgpr_private_segment_size 0
		.amdhsa_uses_dynamic_stack 0
		.amdhsa_system_sgpr_private_segment_wavefront_offset 0
		.amdhsa_system_sgpr_workgroup_id_x 1
		.amdhsa_system_sgpr_workgroup_id_y 0
		.amdhsa_system_sgpr_workgroup_id_z 1
		.amdhsa_system_sgpr_workgroup_info 0
		.amdhsa_system_vgpr_workitem_id 1
		.amdhsa_next_free_vgpr 6
		.amdhsa_next_free_sgpr 12
		.amdhsa_accum_offset 8
		.amdhsa_reserve_vcc 1
		.amdhsa_reserve_flat_scratch 0
		.amdhsa_float_round_mode_32 0
		.amdhsa_float_round_mode_16_64 0
		.amdhsa_float_denorm_mode_32 3
		.amdhsa_float_denorm_mode_16_64 3
		.amdhsa_dx10_clamp 1
		.amdhsa_ieee_mode 1
		.amdhsa_fp16_overflow 0
		.amdhsa_tg_split 0
		.amdhsa_exception_fp_ieee_invalid_op 0
		.amdhsa_exception_fp_denorm_src 0
		.amdhsa_exception_fp_ieee_div_zero 0
		.amdhsa_exception_fp_ieee_overflow 0
		.amdhsa_exception_fp_ieee_underflow 0
		.amdhsa_exception_fp_ieee_inexact 0
		.amdhsa_exception_int_div_zero 0
	.end_amdhsa_kernel
	.section	.text._ZL31rocblas_geam_zero_matrix_deviceILi16ELi16EPKP19rocblas_complex_numIfEEviiT1_llli,"axG",@progbits,_ZL31rocblas_geam_zero_matrix_deviceILi16ELi16EPKP19rocblas_complex_numIfEEviiT1_llli,comdat
.Lfunc_end54:
	.size	_ZL31rocblas_geam_zero_matrix_deviceILi16ELi16EPKP19rocblas_complex_numIfEEviiT1_llli, .Lfunc_end54-_ZL31rocblas_geam_zero_matrix_deviceILi16ELi16EPKP19rocblas_complex_numIfEEviiT1_llli
                                        ; -- End function
	.section	.AMDGPU.csdata,"",@progbits
; Kernel info:
; codeLenInByte = 344
; NumSgprs: 16
; NumVgprs: 6
; NumAgprs: 0
; TotalNumVgprs: 6
; ScratchSize: 0
; MemoryBound: 0
; FloatMode: 240
; IeeeMode: 1
; LDSByteSize: 0 bytes/workgroup (compile time only)
; SGPRBlocks: 1
; VGPRBlocks: 0
; NumSGPRsForWavesPerEU: 16
; NumVGPRsForWavesPerEU: 6
; AccumOffset: 8
; Occupancy: 8
; WaveLimiterHint : 1
; COMPUTE_PGM_RSRC2:SCRATCH_EN: 0
; COMPUTE_PGM_RSRC2:USER_SGPR: 6
; COMPUTE_PGM_RSRC2:TRAP_HANDLER: 0
; COMPUTE_PGM_RSRC2:TGID_X_EN: 1
; COMPUTE_PGM_RSRC2:TGID_Y_EN: 0
; COMPUTE_PGM_RSRC2:TGID_Z_EN: 1
; COMPUTE_PGM_RSRC2:TIDIG_COMP_CNT: 1
; COMPUTE_PGM_RSRC3_GFX90A:ACCUM_OFFSET: 1
; COMPUTE_PGM_RSRC3_GFX90A:TG_SPLIT: 0
	.section	.text._ZL27rocblas_geam_inplace_deviceILi16ELi16E19rocblas_complex_numIfEPKPKS1_PKPS1_Ev18rocblas_operation_iiT1_SA_T2_lllT3_llli,"axG",@progbits,_ZL27rocblas_geam_inplace_deviceILi16ELi16E19rocblas_complex_numIfEPKPKS1_PKPS1_Ev18rocblas_operation_iiT1_SA_T2_lllT3_llli,comdat
	.globl	_ZL27rocblas_geam_inplace_deviceILi16ELi16E19rocblas_complex_numIfEPKPKS1_PKPS1_Ev18rocblas_operation_iiT1_SA_T2_lllT3_llli ; -- Begin function _ZL27rocblas_geam_inplace_deviceILi16ELi16E19rocblas_complex_numIfEPKPKS1_PKPS1_Ev18rocblas_operation_iiT1_SA_T2_lllT3_llli
	.p2align	8
	.type	_ZL27rocblas_geam_inplace_deviceILi16ELi16E19rocblas_complex_numIfEPKPKS1_PKPS1_Ev18rocblas_operation_iiT1_SA_T2_lllT3_llli,@function
_ZL27rocblas_geam_inplace_deviceILi16ELi16E19rocblas_complex_numIfEPKPKS1_PKPS1_Ev18rocblas_operation_iiT1_SA_T2_lllT3_llli: ; @_ZL27rocblas_geam_inplace_deviceILi16ELi16E19rocblas_complex_numIfEPKPKS1_PKPS1_Ev18rocblas_operation_iiT1_SA_T2_lllT3_llli
; %bb.0:
	s_load_dwordx4 s[8:11], s[4:5], 0x0
	s_mov_b32 s12, s7
	v_and_b32_e32 v3, 0x3ff, v0
	v_bfe_u32 v0, v0, 10, 10
	s_waitcnt lgkmcnt(0)
	s_add_i32 s0, s9, -1
	s_ashr_i32 s1, s0, 31
	s_lshr_b32 s1, s1, 28
	s_add_i32 s0, s0, s1
	s_ashr_i32 s0, s0, 4
	s_add_i32 s1, s0, 1
	v_cvt_f32_u32_e32 v1, s1
	s_not_b32 s0, s0
	v_rcp_iflag_f32_e32 v1, v1
	v_mul_f32_e32 v1, 0x4f7ffffe, v1
	v_cvt_u32_f32_e32 v1, v1
	v_readfirstlane_b32 s2, v1
	s_mul_i32 s0, s0, s2
	s_mul_hi_u32 s0, s2, s0
	s_add_i32 s2, s2, s0
	s_mul_hi_u32 s0, s6, s2
	s_mul_i32 s2, s0, s1
	s_sub_i32 s2, s6, s2
	s_add_i32 s3, s0, 1
	s_sub_i32 s7, s2, s1
	s_cmp_ge_u32 s2, s1
	s_cselect_b32 s0, s3, s0
	s_cselect_b32 s2, s7, s2
	s_add_i32 s3, s0, 1
	s_cmp_ge_u32 s2, s1
	s_cselect_b32 s0, s3, s0
	s_mul_i32 s1, s0, s1
	v_lshl_add_u32 v2, s0, 4, v0
	s_sub_i32 s0, s6, s1
	v_lshl_add_u32 v4, s0, 4, v3
	v_cmp_gt_i32_e32 vcc, s9, v4
	v_cmp_gt_i32_e64 s[0:1], s10, v2
	s_and_b64 s[0:1], vcc, s[0:1]
	s_and_saveexec_b64 s[2:3], s[0:1]
	s_cbranch_execz .LBB55_11
; %bb.1:
	s_load_dwordx4 s[16:19], s[4:5], 0x40
	s_load_dwordx4 s[0:3], s[4:5], 0xc
	s_load_dwordx2 s[10:11], s[4:5], 0x50
	s_mov_b32 s13, 0
	s_lshl_b64 s[6:7], s[12:13], 3
	s_waitcnt lgkmcnt(0)
	s_add_u32 s12, s16, s6
	s_addc_u32 s13, s17, s7
	s_load_dwordx2 s[12:13], s[12:13], 0x0
	v_ashrrev_i32_e32 v5, 31, v4
	v_ashrrev_i32_e32 v3, 31, v2
	s_lshl_b64 s[14:15], s[18:19], 3
	v_mul_lo_u32 v6, v2, s11
	s_waitcnt lgkmcnt(0)
	s_add_u32 s9, s12, s14
	v_mul_lo_u32 v7, v3, s10
	v_mad_u64_u32 v[0:1], s[10:11], v2, s10, v[4:5]
	s_addc_u32 s12, s13, s15
	s_or_b32 s10, s2, s3
	v_add3_u32 v1, v7, v1, v6
	s_and_b32 s13, s10, 0x7fffffff
	s_mov_b64 s[10:11], -1
	s_cmp_lg_u32 s13, 0
	v_lshlrev_b64 v[0:1], 3, v[0:1]
	s_cbranch_scc0 .LBB55_7
; %bb.2:
	s_load_dwordx4 s[16:19], s[4:5], 0x20
	s_load_dwordx2 s[10:11], s[4:5], 0x30
	s_waitcnt lgkmcnt(0)
	s_add_u32 s4, s16, s6
	s_addc_u32 s5, s17, s7
	s_load_dwordx2 s[4:5], s[4:5], 0x0
	s_lshl_b64 s[6:7], s[18:19], 3
	s_waitcnt lgkmcnt(0)
	s_add_u32 s6, s4, s6
	s_addc_u32 s7, s5, s7
	s_cmpk_eq_i32 s8, 0x6f
	s_cselect_b64 vcc, -1, 0
	v_cndmask_b32_e32 v6, v4, v2, vcc
	v_cndmask_b32_e32 v7, v5, v3, vcc
	;; [unrolled: 1-line block ×4, first 2 shown]
	v_mul_lo_u32 v8, v6, s11
	v_mad_u64_u32 v[4:5], s[4:5], v6, s10, 0
	v_mul_lo_u32 v6, v7, s10
	v_add3_u32 v5, v5, v8, v6
	v_lshlrev_b64 v[4:5], 3, v[4:5]
	v_mov_b32_e32 v6, s7
	v_add_co_u32_e32 v4, vcc, s6, v4
	v_addc_co_u32_e32 v5, vcc, v6, v5, vcc
	v_lshlrev_b64 v[2:3], 3, v[2:3]
	v_add_co_u32_e32 v2, vcc, v4, v2
	v_addc_co_u32_e32 v3, vcc, v5, v3, vcc
	global_load_dwordx2 v[6:7], v[2:3], off
	s_cmpk_eq_i32 s8, 0x71
	s_cselect_b64 s[10:11], -1, 0
	v_cmp_eq_f32_e64 s[4:5], s0, 0
	v_cmp_eq_f32_e64 s[6:7], s1, 0
	v_mov_b32_e32 v3, s12
	v_add_co_u32_e32 v2, vcc, s9, v0
	v_addc_co_u32_e32 v3, vcc, v3, v1, vcc
	s_and_b64 s[4:5], s[4:5], s[6:7]
	s_andn2_b64 vcc, exec, s[4:5]
	s_waitcnt vmcnt(0)
	v_cndmask_b32_e64 v4, v7, -v7, s[10:11]
	v_pk_mul_f32 v[8:9], v[4:5], s[2:3] op_sel_hi:[0,1]
	v_pk_fma_f32 v[4:5], v[6:7], s[2:3], v[8:9] op_sel:[0,0,1] op_sel_hi:[0,1,0] neg_lo:[0,0,1] neg_hi:[0,0,1]
	v_pk_fma_f32 v[6:7], v[6:7], s[2:3], v[8:9] op_sel:[0,0,1] op_sel_hi:[0,1,0]
	s_mov_b64 s[2:3], -1
	s_cbranch_vccz .LBB55_4
; %bb.3:
	global_load_dwordx2 v[8:9], v[2:3], off
	s_mov_b64 s[2:3], 0
	s_waitcnt vmcnt(0)
	v_mul_f32_e32 v5, s1, v9
	v_mul_f32_e32 v6, s0, v9
	v_fma_f32 v5, v8, s0, -v5
	v_fmac_f32_e32 v6, s1, v8
	v_add_f32_e32 v8, v4, v5
	v_add_f32_e32 v9, v7, v6
	global_store_dwordx2 v[2:3], v[8:9], off
.LBB55_4:
	s_andn2_b64 vcc, exec, s[2:3]
	s_cbranch_vccnz .LBB55_6
; %bb.5:
	v_mov_b32_e32 v5, v7
	global_store_dwordx2 v[2:3], v[4:5], off
.LBB55_6:
	s_mov_b64 s[10:11], 0
.LBB55_7:
	s_andn2_b64 vcc, exec, s[10:11]
	s_cbranch_vccnz .LBB55_11
; %bb.8:
	v_cmp_neq_f32_e64 s[2:3], s0, 0
	v_cmp_neq_f32_e64 s[4:5], s1, 0
	s_or_b64 s[2:3], s[2:3], s[4:5]
	s_andn2_b64 vcc, exec, s[2:3]
	v_mov_b32_e32 v2, 0
	v_mov_b32_e32 v3, 0
	s_cbranch_vccnz .LBB55_10
; %bb.9:
	v_mov_b32_e32 v3, s12
	v_add_co_u32_e32 v2, vcc, s9, v0
	v_addc_co_u32_e32 v3, vcc, v3, v1, vcc
	global_load_dwordx2 v[4:5], v[2:3], off
	s_waitcnt vmcnt(0)
	v_pk_mul_f32 v[6:7], v[4:5], s[0:1] op_sel:[1,0]
	v_pk_fma_f32 v[2:3], v[4:5], s[0:1], v[6:7] op_sel:[0,0,1] op_sel_hi:[1,1,0] neg_lo:[0,0,1] neg_hi:[0,0,1]
	v_pk_fma_f32 v[4:5], v[4:5], s[0:1], v[6:7] op_sel:[0,0,1] op_sel_hi:[0,1,0]
	v_mov_b32_e32 v3, v5
.LBB55_10:
	v_mov_b32_e32 v4, s12
	v_add_co_u32_e32 v0, vcc, s9, v0
	v_addc_co_u32_e32 v1, vcc, v4, v1, vcc
	global_store_dwordx2 v[0:1], v[2:3], off
.LBB55_11:
	s_endpgm
	.section	.rodata,"a",@progbits
	.p2align	6, 0x0
	.amdhsa_kernel _ZL27rocblas_geam_inplace_deviceILi16ELi16E19rocblas_complex_numIfEPKPKS1_PKPS1_Ev18rocblas_operation_iiT1_SA_T2_lllT3_llli
		.amdhsa_group_segment_fixed_size 0
		.amdhsa_private_segment_fixed_size 0
		.amdhsa_kernarg_size 100
		.amdhsa_user_sgpr_count 6
		.amdhsa_user_sgpr_private_segment_buffer 1
		.amdhsa_user_sgpr_dispatch_ptr 0
		.amdhsa_user_sgpr_queue_ptr 0
		.amdhsa_user_sgpr_kernarg_segment_ptr 1
		.amdhsa_user_sgpr_dispatch_id 0
		.amdhsa_user_sgpr_flat_scratch_init 0
		.amdhsa_user_sgpr_kernarg_preload_length 0
		.amdhsa_user_sgpr_kernarg_preload_offset 0
		.amdhsa_user_sgpr_private_segment_size 0
		.amdhsa_uses_dynamic_stack 0
		.amdhsa_system_sgpr_private_segment_wavefront_offset 0
		.amdhsa_system_sgpr_workgroup_id_x 1
		.amdhsa_system_sgpr_workgroup_id_y 0
		.amdhsa_system_sgpr_workgroup_id_z 1
		.amdhsa_system_sgpr_workgroup_info 0
		.amdhsa_system_vgpr_workitem_id 1
		.amdhsa_next_free_vgpr 10
		.amdhsa_next_free_sgpr 20
		.amdhsa_accum_offset 12
		.amdhsa_reserve_vcc 1
		.amdhsa_reserve_flat_scratch 0
		.amdhsa_float_round_mode_32 0
		.amdhsa_float_round_mode_16_64 0
		.amdhsa_float_denorm_mode_32 3
		.amdhsa_float_denorm_mode_16_64 3
		.amdhsa_dx10_clamp 1
		.amdhsa_ieee_mode 1
		.amdhsa_fp16_overflow 0
		.amdhsa_tg_split 0
		.amdhsa_exception_fp_ieee_invalid_op 0
		.amdhsa_exception_fp_denorm_src 0
		.amdhsa_exception_fp_ieee_div_zero 0
		.amdhsa_exception_fp_ieee_overflow 0
		.amdhsa_exception_fp_ieee_underflow 0
		.amdhsa_exception_fp_ieee_inexact 0
		.amdhsa_exception_int_div_zero 0
	.end_amdhsa_kernel
	.section	.text._ZL27rocblas_geam_inplace_deviceILi16ELi16E19rocblas_complex_numIfEPKPKS1_PKPS1_Ev18rocblas_operation_iiT1_SA_T2_lllT3_llli,"axG",@progbits,_ZL27rocblas_geam_inplace_deviceILi16ELi16E19rocblas_complex_numIfEPKPKS1_PKPS1_Ev18rocblas_operation_iiT1_SA_T2_lllT3_llli,comdat
.Lfunc_end55:
	.size	_ZL27rocblas_geam_inplace_deviceILi16ELi16E19rocblas_complex_numIfEPKPKS1_PKPS1_Ev18rocblas_operation_iiT1_SA_T2_lllT3_llli, .Lfunc_end55-_ZL27rocblas_geam_inplace_deviceILi16ELi16E19rocblas_complex_numIfEPKPKS1_PKPS1_Ev18rocblas_operation_iiT1_SA_T2_lllT3_llli
                                        ; -- End function
	.section	.AMDGPU.csdata,"",@progbits
; Kernel info:
; codeLenInByte = 764
; NumSgprs: 24
; NumVgprs: 10
; NumAgprs: 0
; TotalNumVgprs: 10
; ScratchSize: 0
; MemoryBound: 0
; FloatMode: 240
; IeeeMode: 1
; LDSByteSize: 0 bytes/workgroup (compile time only)
; SGPRBlocks: 2
; VGPRBlocks: 1
; NumSGPRsForWavesPerEU: 24
; NumVGPRsForWavesPerEU: 10
; AccumOffset: 12
; Occupancy: 8
; WaveLimiterHint : 1
; COMPUTE_PGM_RSRC2:SCRATCH_EN: 0
; COMPUTE_PGM_RSRC2:USER_SGPR: 6
; COMPUTE_PGM_RSRC2:TRAP_HANDLER: 0
; COMPUTE_PGM_RSRC2:TGID_X_EN: 1
; COMPUTE_PGM_RSRC2:TGID_Y_EN: 0
; COMPUTE_PGM_RSRC2:TGID_Z_EN: 1
; COMPUTE_PGM_RSRC2:TIDIG_COMP_CNT: 1
; COMPUTE_PGM_RSRC3_GFX90A:ACCUM_OFFSET: 2
; COMPUTE_PGM_RSRC3_GFX90A:TG_SPLIT: 0
	.section	.text._ZL27rocblas_geam_inplace_deviceILi16ELi16EPK19rocblas_complex_numIfEPKS3_PKPS1_Ev18rocblas_operation_iiT1_SA_T2_lllT3_llli,"axG",@progbits,_ZL27rocblas_geam_inplace_deviceILi16ELi16EPK19rocblas_complex_numIfEPKS3_PKPS1_Ev18rocblas_operation_iiT1_SA_T2_lllT3_llli,comdat
	.globl	_ZL27rocblas_geam_inplace_deviceILi16ELi16EPK19rocblas_complex_numIfEPKS3_PKPS1_Ev18rocblas_operation_iiT1_SA_T2_lllT3_llli ; -- Begin function _ZL27rocblas_geam_inplace_deviceILi16ELi16EPK19rocblas_complex_numIfEPKS3_PKPS1_Ev18rocblas_operation_iiT1_SA_T2_lllT3_llli
	.p2align	8
	.type	_ZL27rocblas_geam_inplace_deviceILi16ELi16EPK19rocblas_complex_numIfEPKS3_PKPS1_Ev18rocblas_operation_iiT1_SA_T2_lllT3_llli,@function
_ZL27rocblas_geam_inplace_deviceILi16ELi16EPK19rocblas_complex_numIfEPKS3_PKPS1_Ev18rocblas_operation_iiT1_SA_T2_lllT3_llli: ; @_ZL27rocblas_geam_inplace_deviceILi16ELi16EPK19rocblas_complex_numIfEPKS3_PKPS1_Ev18rocblas_operation_iiT1_SA_T2_lllT3_llli
; %bb.0:
	s_load_dwordx4 s[16:19], s[4:5], 0x0
	s_mov_b32 s2, s7
	v_and_b32_e32 v3, 0x3ff, v0
	v_bfe_u32 v0, v0, 10, 10
	s_waitcnt lgkmcnt(0)
	s_add_i32 s0, s17, -1
	s_ashr_i32 s1, s0, 31
	s_lshr_b32 s1, s1, 28
	s_add_i32 s0, s0, s1
	s_ashr_i32 s0, s0, 4
	s_add_i32 s1, s0, 1
	v_cvt_f32_u32_e32 v1, s1
	s_not_b32 s0, s0
	v_rcp_iflag_f32_e32 v1, v1
	v_mul_f32_e32 v1, 0x4f7ffffe, v1
	v_cvt_u32_f32_e32 v1, v1
	v_readfirstlane_b32 s3, v1
	s_mul_i32 s0, s0, s3
	s_mul_hi_u32 s0, s3, s0
	s_add_i32 s3, s3, s0
	s_mul_hi_u32 s0, s6, s3
	s_mul_i32 s3, s0, s1
	s_sub_i32 s3, s6, s3
	s_add_i32 s7, s0, 1
	s_sub_i32 s8, s3, s1
	s_cmp_ge_u32 s3, s1
	s_cselect_b32 s0, s7, s0
	s_cselect_b32 s3, s8, s3
	s_add_i32 s7, s0, 1
	s_cmp_ge_u32 s3, s1
	s_cselect_b32 s0, s7, s0
	s_mul_i32 s1, s0, s1
	v_lshl_add_u32 v2, s0, 4, v0
	s_sub_i32 s0, s6, s1
	v_lshl_add_u32 v4, s0, 4, v3
	v_cmp_gt_i32_e32 vcc, s17, v4
	v_cmp_gt_i32_e64 s[0:1], s18, v2
	s_and_b64 s[0:1], vcc, s[0:1]
	s_and_saveexec_b64 s[6:7], s[0:1]
	s_cbranch_execz .LBB56_11
; %bb.1:
	s_load_dwordx4 s[20:23], s[4:5], 0x40
	s_load_dwordx8 s[8:15], s[4:5], 0x10
	s_load_dwordx2 s[18:19], s[4:5], 0x50
	s_mov_b32 s3, 0
	s_lshl_b64 s[6:7], s[2:3], 3
	s_waitcnt lgkmcnt(0)
	s_add_u32 s0, s20, s6
	s_addc_u32 s1, s21, s7
	s_load_dwordx2 s[20:21], s[0:1], 0x0
	s_nop 0
	s_load_dwordx2 s[0:1], s[8:9], 0x0
	s_load_dwordx2 s[2:3], s[10:11], 0x0
	s_lshl_b64 s[8:9], s[22:23], 3
	v_ashrrev_i32_e32 v5, 31, v4
	v_ashrrev_i32_e32 v3, 31, v2
	s_waitcnt lgkmcnt(0)
	s_add_u32 s10, s20, s8
	s_addc_u32 s11, s21, s9
	v_mad_u64_u32 v[0:1], s[8:9], v2, s18, v[4:5]
	v_mul_lo_u32 v6, v2, s19
	v_mul_lo_u32 v7, v3, s18
	s_or_b32 s8, s2, s3
	v_add3_u32 v1, v7, v1, v6
	s_and_b32 s17, s8, 0x7fffffff
	s_mov_b64 s[8:9], -1
	s_cmp_lg_u32 s17, 0
	v_lshlrev_b64 v[0:1], 3, v[0:1]
	s_cbranch_scc0 .LBB56_7
; %bb.2:
	s_add_u32 s6, s12, s6
	s_addc_u32 s7, s13, s7
	s_load_dwordx2 s[8:9], s[6:7], 0x0
	s_load_dwordx2 s[12:13], s[4:5], 0x30
	s_lshl_b64 s[4:5], s[14:15], 3
	s_waitcnt lgkmcnt(0)
	s_add_u32 s6, s8, s4
	s_addc_u32 s7, s9, s5
	s_cmpk_eq_i32 s16, 0x6f
	s_cselect_b64 vcc, -1, 0
	v_cndmask_b32_e32 v6, v4, v2, vcc
	v_cndmask_b32_e32 v7, v5, v3, vcc
	;; [unrolled: 1-line block ×4, first 2 shown]
	v_mul_lo_u32 v7, v7, s12
	v_mul_lo_u32 v8, v6, s13
	v_mad_u64_u32 v[4:5], s[4:5], v6, s12, 0
	v_add3_u32 v5, v5, v8, v7
	v_lshlrev_b64 v[4:5], 3, v[4:5]
	v_mov_b32_e32 v6, s7
	v_add_co_u32_e32 v4, vcc, s6, v4
	v_addc_co_u32_e32 v5, vcc, v6, v5, vcc
	v_lshlrev_b64 v[2:3], 3, v[2:3]
	v_add_co_u32_e32 v2, vcc, v4, v2
	v_addc_co_u32_e32 v3, vcc, v5, v3, vcc
	global_load_dwordx2 v[6:7], v[2:3], off
	s_cmpk_eq_i32 s16, 0x71
	s_cselect_b64 s[8:9], -1, 0
	v_cmp_eq_f32_e64 s[4:5], s0, 0
	v_cmp_eq_f32_e64 s[6:7], s1, 0
	v_mov_b32_e32 v3, s11
	v_add_co_u32_e32 v2, vcc, s10, v0
	v_addc_co_u32_e32 v3, vcc, v3, v1, vcc
	s_and_b64 s[4:5], s[4:5], s[6:7]
	s_andn2_b64 vcc, exec, s[4:5]
	s_waitcnt vmcnt(0)
	v_cndmask_b32_e64 v4, v7, -v7, s[8:9]
	v_pk_mul_f32 v[8:9], v[4:5], s[2:3] op_sel_hi:[0,1]
	v_pk_fma_f32 v[4:5], v[6:7], s[2:3], v[8:9] op_sel:[0,0,1] op_sel_hi:[0,1,0] neg_lo:[0,0,1] neg_hi:[0,0,1]
	v_pk_fma_f32 v[6:7], v[6:7], s[2:3], v[8:9] op_sel:[0,0,1] op_sel_hi:[0,1,0]
	s_mov_b64 s[2:3], -1
	s_cbranch_vccz .LBB56_4
; %bb.3:
	global_load_dwordx2 v[8:9], v[2:3], off
	s_mov_b64 s[2:3], 0
	s_waitcnt vmcnt(0)
	v_mul_f32_e32 v5, s1, v9
	v_mul_f32_e32 v6, s0, v9
	v_fma_f32 v5, v8, s0, -v5
	v_fmac_f32_e32 v6, s1, v8
	v_add_f32_e32 v8, v4, v5
	v_add_f32_e32 v9, v7, v6
	global_store_dwordx2 v[2:3], v[8:9], off
.LBB56_4:
	s_andn2_b64 vcc, exec, s[2:3]
	s_cbranch_vccnz .LBB56_6
; %bb.5:
	v_mov_b32_e32 v5, v7
	global_store_dwordx2 v[2:3], v[4:5], off
.LBB56_6:
	s_mov_b64 s[8:9], 0
.LBB56_7:
	s_andn2_b64 vcc, exec, s[8:9]
	s_cbranch_vccnz .LBB56_11
; %bb.8:
	v_cmp_neq_f32_e64 s[2:3], s0, 0
	v_cmp_neq_f32_e64 s[4:5], s1, 0
	s_or_b64 s[2:3], s[2:3], s[4:5]
	s_andn2_b64 vcc, exec, s[2:3]
	v_mov_b32_e32 v2, 0
	v_mov_b32_e32 v3, 0
	s_cbranch_vccnz .LBB56_10
; %bb.9:
	v_mov_b32_e32 v3, s11
	v_add_co_u32_e32 v2, vcc, s10, v0
	v_addc_co_u32_e32 v3, vcc, v3, v1, vcc
	global_load_dwordx2 v[4:5], v[2:3], off
	s_waitcnt vmcnt(0)
	v_pk_mul_f32 v[6:7], v[4:5], s[0:1] op_sel:[1,0]
	v_pk_fma_f32 v[2:3], v[4:5], s[0:1], v[6:7] op_sel:[0,0,1] op_sel_hi:[1,1,0] neg_lo:[0,0,1] neg_hi:[0,0,1]
	v_pk_fma_f32 v[4:5], v[4:5], s[0:1], v[6:7] op_sel:[0,0,1] op_sel_hi:[0,1,0]
	v_mov_b32_e32 v3, v5
.LBB56_10:
	v_mov_b32_e32 v4, s11
	v_add_co_u32_e32 v0, vcc, s10, v0
	v_addc_co_u32_e32 v1, vcc, v4, v1, vcc
	global_store_dwordx2 v[0:1], v[2:3], off
.LBB56_11:
	s_endpgm
	.section	.rodata,"a",@progbits
	.p2align	6, 0x0
	.amdhsa_kernel _ZL27rocblas_geam_inplace_deviceILi16ELi16EPK19rocblas_complex_numIfEPKS3_PKPS1_Ev18rocblas_operation_iiT1_SA_T2_lllT3_llli
		.amdhsa_group_segment_fixed_size 0
		.amdhsa_private_segment_fixed_size 0
		.amdhsa_kernarg_size 100
		.amdhsa_user_sgpr_count 6
		.amdhsa_user_sgpr_private_segment_buffer 1
		.amdhsa_user_sgpr_dispatch_ptr 0
		.amdhsa_user_sgpr_queue_ptr 0
		.amdhsa_user_sgpr_kernarg_segment_ptr 1
		.amdhsa_user_sgpr_dispatch_id 0
		.amdhsa_user_sgpr_flat_scratch_init 0
		.amdhsa_user_sgpr_kernarg_preload_length 0
		.amdhsa_user_sgpr_kernarg_preload_offset 0
		.amdhsa_user_sgpr_private_segment_size 0
		.amdhsa_uses_dynamic_stack 0
		.amdhsa_system_sgpr_private_segment_wavefront_offset 0
		.amdhsa_system_sgpr_workgroup_id_x 1
		.amdhsa_system_sgpr_workgroup_id_y 0
		.amdhsa_system_sgpr_workgroup_id_z 1
		.amdhsa_system_sgpr_workgroup_info 0
		.amdhsa_system_vgpr_workitem_id 1
		.amdhsa_next_free_vgpr 10
		.amdhsa_next_free_sgpr 24
		.amdhsa_accum_offset 12
		.amdhsa_reserve_vcc 1
		.amdhsa_reserve_flat_scratch 0
		.amdhsa_float_round_mode_32 0
		.amdhsa_float_round_mode_16_64 0
		.amdhsa_float_denorm_mode_32 3
		.amdhsa_float_denorm_mode_16_64 3
		.amdhsa_dx10_clamp 1
		.amdhsa_ieee_mode 1
		.amdhsa_fp16_overflow 0
		.amdhsa_tg_split 0
		.amdhsa_exception_fp_ieee_invalid_op 0
		.amdhsa_exception_fp_denorm_src 0
		.amdhsa_exception_fp_ieee_div_zero 0
		.amdhsa_exception_fp_ieee_overflow 0
		.amdhsa_exception_fp_ieee_underflow 0
		.amdhsa_exception_fp_ieee_inexact 0
		.amdhsa_exception_int_div_zero 0
	.end_amdhsa_kernel
	.section	.text._ZL27rocblas_geam_inplace_deviceILi16ELi16EPK19rocblas_complex_numIfEPKS3_PKPS1_Ev18rocblas_operation_iiT1_SA_T2_lllT3_llli,"axG",@progbits,_ZL27rocblas_geam_inplace_deviceILi16ELi16EPK19rocblas_complex_numIfEPKS3_PKPS1_Ev18rocblas_operation_iiT1_SA_T2_lllT3_llli,comdat
.Lfunc_end56:
	.size	_ZL27rocblas_geam_inplace_deviceILi16ELi16EPK19rocblas_complex_numIfEPKS3_PKPS1_Ev18rocblas_operation_iiT1_SA_T2_lllT3_llli, .Lfunc_end56-_ZL27rocblas_geam_inplace_deviceILi16ELi16EPK19rocblas_complex_numIfEPKS3_PKPS1_Ev18rocblas_operation_iiT1_SA_T2_lllT3_llli
                                        ; -- End function
	.section	.AMDGPU.csdata,"",@progbits
; Kernel info:
; codeLenInByte = 772
; NumSgprs: 28
; NumVgprs: 10
; NumAgprs: 0
; TotalNumVgprs: 10
; ScratchSize: 0
; MemoryBound: 0
; FloatMode: 240
; IeeeMode: 1
; LDSByteSize: 0 bytes/workgroup (compile time only)
; SGPRBlocks: 3
; VGPRBlocks: 1
; NumSGPRsForWavesPerEU: 28
; NumVGPRsForWavesPerEU: 10
; AccumOffset: 12
; Occupancy: 8
; WaveLimiterHint : 1
; COMPUTE_PGM_RSRC2:SCRATCH_EN: 0
; COMPUTE_PGM_RSRC2:USER_SGPR: 6
; COMPUTE_PGM_RSRC2:TRAP_HANDLER: 0
; COMPUTE_PGM_RSRC2:TGID_X_EN: 1
; COMPUTE_PGM_RSRC2:TGID_Y_EN: 0
; COMPUTE_PGM_RSRC2:TGID_Z_EN: 1
; COMPUTE_PGM_RSRC2:TIDIG_COMP_CNT: 1
; COMPUTE_PGM_RSRC3_GFX90A:ACCUM_OFFSET: 2
; COMPUTE_PGM_RSRC3_GFX90A:TG_SPLIT: 0
	.section	.text._ZL30rocblas_geam_1D_2matrix_deviceILi256E19rocblas_complex_numIfEPKPKS1_PKPS1_EvmT0_T1_llT2_lli,"axG",@progbits,_ZL30rocblas_geam_1D_2matrix_deviceILi256E19rocblas_complex_numIfEPKPKS1_PKPS1_EvmT0_T1_llT2_lli,comdat
	.globl	_ZL30rocblas_geam_1D_2matrix_deviceILi256E19rocblas_complex_numIfEPKPKS1_PKPS1_EvmT0_T1_llT2_lli ; -- Begin function _ZL30rocblas_geam_1D_2matrix_deviceILi256E19rocblas_complex_numIfEPKPKS1_PKPS1_EvmT0_T1_llT2_lli
	.p2align	8
	.type	_ZL30rocblas_geam_1D_2matrix_deviceILi256E19rocblas_complex_numIfEPKPKS1_PKPS1_EvmT0_T1_llT2_lli,@function
_ZL30rocblas_geam_1D_2matrix_deviceILi256E19rocblas_complex_numIfEPKPKS1_PKPS1_EvmT0_T1_llT2_lli: ; @_ZL30rocblas_geam_1D_2matrix_deviceILi256E19rocblas_complex_numIfEPKPKS1_PKPS1_EvmT0_T1_llT2_lli
; %bb.0:
	s_load_dword s1, s[4:5], 0x54
	s_load_dwordx2 s[2:3], s[4:5], 0x0
	v_mov_b32_e32 v1, 0
	v_mov_b32_e32 v2, s6
	s_mov_b32 s0, s7
	s_waitcnt lgkmcnt(0)
	s_and_b32 s1, s1, 0xffff
	v_mad_u64_u32 v[0:1], s[6:7], s1, v2, v[0:1]
	v_cmp_gt_u64_e32 vcc, s[2:3], v[0:1]
	s_and_saveexec_b64 s[2:3], vcc
	s_cbranch_execz .LBB57_5
; %bb.1:
	s_load_dwordx4 s[8:11], s[4:5], 0x28
	s_mov_b32 s1, 0
	s_lshl_b64 s[2:3], s[0:1], 3
	v_lshlrev_b64 v[0:1], 3, v[0:1]
	s_waitcnt lgkmcnt(0)
	s_add_u32 s6, s8, s2
	s_addc_u32 s7, s9, s3
	s_load_dwordx2 s[8:9], s[6:7], 0x0
	s_load_dwordx2 s[0:1], s[4:5], 0x8
	s_lshl_b64 s[6:7], s[10:11], 3
	s_waitcnt lgkmcnt(0)
	s_add_u32 s8, s8, s6
	s_addc_u32 s9, s9, s7
	s_or_b32 s6, s0, s1
	s_and_b32 s10, s6, 0x7fffffff
	s_mov_b64 s[6:7], -1
	s_cmp_lg_u32 s10, 0
	s_cbranch_scc0 .LBB57_3
; %bb.2:
	s_load_dwordx4 s[4:7], s[4:5], 0x10
	v_mov_b32_e32 v5, s9
	s_waitcnt lgkmcnt(0)
	s_add_u32 s2, s4, s2
	s_addc_u32 s3, s5, s3
	s_load_dwordx2 s[2:3], s[2:3], 0x0
	s_lshl_b64 s[4:5], s[6:7], 3
	s_mov_b64 s[6:7], 0
	s_waitcnt lgkmcnt(0)
	s_add_u32 s2, s2, s4
	s_addc_u32 s3, s3, s5
	v_mov_b32_e32 v3, s3
	v_add_co_u32_e32 v2, vcc, s2, v0
	v_addc_co_u32_e32 v3, vcc, v3, v1, vcc
	global_load_dwordx2 v[2:3], v[2:3], off
	v_add_co_u32_e32 v4, vcc, s8, v0
	v_addc_co_u32_e32 v5, vcc, v5, v1, vcc
	s_waitcnt vmcnt(0)
	v_mul_f32_e32 v6, s1, v3
	v_mul_f32_e32 v7, s0, v3
	v_fma_f32 v6, v2, s0, -v6
	v_fmac_f32_e32 v7, s1, v2
	global_store_dwordx2 v[4:5], v[6:7], off
.LBB57_3:
	s_andn2_b64 vcc, exec, s[6:7]
	s_cbranch_vccnz .LBB57_5
; %bb.4:
	v_mov_b32_e32 v2, s9
	v_add_co_u32_e32 v0, vcc, s8, v0
	v_addc_co_u32_e32 v1, vcc, v2, v1, vcc
	v_mov_b32_e32 v2, 0
	v_mov_b32_e32 v3, v2
	global_store_dwordx2 v[0:1], v[2:3], off
.LBB57_5:
	s_endpgm
	.section	.rodata,"a",@progbits
	.p2align	6, 0x0
	.amdhsa_kernel _ZL30rocblas_geam_1D_2matrix_deviceILi256E19rocblas_complex_numIfEPKPKS1_PKPS1_EvmT0_T1_llT2_lli
		.amdhsa_group_segment_fixed_size 0
		.amdhsa_private_segment_fixed_size 0
		.amdhsa_kernarg_size 328
		.amdhsa_user_sgpr_count 6
		.amdhsa_user_sgpr_private_segment_buffer 1
		.amdhsa_user_sgpr_dispatch_ptr 0
		.amdhsa_user_sgpr_queue_ptr 0
		.amdhsa_user_sgpr_kernarg_segment_ptr 1
		.amdhsa_user_sgpr_dispatch_id 0
		.amdhsa_user_sgpr_flat_scratch_init 0
		.amdhsa_user_sgpr_kernarg_preload_length 0
		.amdhsa_user_sgpr_kernarg_preload_offset 0
		.amdhsa_user_sgpr_private_segment_size 0
		.amdhsa_uses_dynamic_stack 0
		.amdhsa_system_sgpr_private_segment_wavefront_offset 0
		.amdhsa_system_sgpr_workgroup_id_x 1
		.amdhsa_system_sgpr_workgroup_id_y 0
		.amdhsa_system_sgpr_workgroup_id_z 1
		.amdhsa_system_sgpr_workgroup_info 0
		.amdhsa_system_vgpr_workitem_id 0
		.amdhsa_next_free_vgpr 8
		.amdhsa_next_free_sgpr 12
		.amdhsa_accum_offset 8
		.amdhsa_reserve_vcc 1
		.amdhsa_reserve_flat_scratch 0
		.amdhsa_float_round_mode_32 0
		.amdhsa_float_round_mode_16_64 0
		.amdhsa_float_denorm_mode_32 3
		.amdhsa_float_denorm_mode_16_64 3
		.amdhsa_dx10_clamp 1
		.amdhsa_ieee_mode 1
		.amdhsa_fp16_overflow 0
		.amdhsa_tg_split 0
		.amdhsa_exception_fp_ieee_invalid_op 0
		.amdhsa_exception_fp_denorm_src 0
		.amdhsa_exception_fp_ieee_div_zero 0
		.amdhsa_exception_fp_ieee_overflow 0
		.amdhsa_exception_fp_ieee_underflow 0
		.amdhsa_exception_fp_ieee_inexact 0
		.amdhsa_exception_int_div_zero 0
	.end_amdhsa_kernel
	.section	.text._ZL30rocblas_geam_1D_2matrix_deviceILi256E19rocblas_complex_numIfEPKPKS1_PKPS1_EvmT0_T1_llT2_lli,"axG",@progbits,_ZL30rocblas_geam_1D_2matrix_deviceILi256E19rocblas_complex_numIfEPKPKS1_PKPS1_EvmT0_T1_llT2_lli,comdat
.Lfunc_end57:
	.size	_ZL30rocblas_geam_1D_2matrix_deviceILi256E19rocblas_complex_numIfEPKPKS1_PKPS1_EvmT0_T1_llT2_lli, .Lfunc_end57-_ZL30rocblas_geam_1D_2matrix_deviceILi256E19rocblas_complex_numIfEPKPKS1_PKPS1_EvmT0_T1_llT2_lli
                                        ; -- End function
	.section	.AMDGPU.csdata,"",@progbits
; Kernel info:
; codeLenInByte = 304
; NumSgprs: 16
; NumVgprs: 8
; NumAgprs: 0
; TotalNumVgprs: 8
; ScratchSize: 0
; MemoryBound: 0
; FloatMode: 240
; IeeeMode: 1
; LDSByteSize: 0 bytes/workgroup (compile time only)
; SGPRBlocks: 1
; VGPRBlocks: 0
; NumSGPRsForWavesPerEU: 16
; NumVGPRsForWavesPerEU: 8
; AccumOffset: 8
; Occupancy: 8
; WaveLimiterHint : 1
; COMPUTE_PGM_RSRC2:SCRATCH_EN: 0
; COMPUTE_PGM_RSRC2:USER_SGPR: 6
; COMPUTE_PGM_RSRC2:TRAP_HANDLER: 0
; COMPUTE_PGM_RSRC2:TGID_X_EN: 1
; COMPUTE_PGM_RSRC2:TGID_Y_EN: 0
; COMPUTE_PGM_RSRC2:TGID_Z_EN: 1
; COMPUTE_PGM_RSRC2:TIDIG_COMP_CNT: 0
; COMPUTE_PGM_RSRC3_GFX90A:ACCUM_OFFSET: 1
; COMPUTE_PGM_RSRC3_GFX90A:TG_SPLIT: 0
	.section	.text._ZL27rocblas_geam_2matrix_deviceILi16ELi16E19rocblas_complex_numIfEPKPKS1_PKPS1_Ev18rocblas_operation_iiT1_T2_lllT3_llli,"axG",@progbits,_ZL27rocblas_geam_2matrix_deviceILi16ELi16E19rocblas_complex_numIfEPKPKS1_PKPS1_Ev18rocblas_operation_iiT1_T2_lllT3_llli,comdat
	.globl	_ZL27rocblas_geam_2matrix_deviceILi16ELi16E19rocblas_complex_numIfEPKPKS1_PKPS1_Ev18rocblas_operation_iiT1_T2_lllT3_llli ; -- Begin function _ZL27rocblas_geam_2matrix_deviceILi16ELi16E19rocblas_complex_numIfEPKPKS1_PKPS1_Ev18rocblas_operation_iiT1_T2_lllT3_llli
	.p2align	8
	.type	_ZL27rocblas_geam_2matrix_deviceILi16ELi16E19rocblas_complex_numIfEPKPKS1_PKPS1_Ev18rocblas_operation_iiT1_T2_lllT3_llli,@function
_ZL27rocblas_geam_2matrix_deviceILi16ELi16E19rocblas_complex_numIfEPKPKS1_PKPS1_Ev18rocblas_operation_iiT1_T2_lllT3_llli: ; @_ZL27rocblas_geam_2matrix_deviceILi16ELi16E19rocblas_complex_numIfEPKPKS1_PKPS1_Ev18rocblas_operation_iiT1_T2_lllT3_llli
; %bb.0:
	s_load_dwordx4 s[8:11], s[4:5], 0x0
	s_mov_b32 s2, s7
	v_and_b32_e32 v3, 0x3ff, v0
	v_bfe_u32 v0, v0, 10, 10
	s_waitcnt lgkmcnt(0)
	s_add_i32 s0, s9, -1
	s_ashr_i32 s1, s0, 31
	s_lshr_b32 s1, s1, 28
	s_add_i32 s0, s0, s1
	s_ashr_i32 s0, s0, 4
	s_add_i32 s1, s0, 1
	v_cvt_f32_u32_e32 v1, s1
	s_not_b32 s0, s0
	v_rcp_iflag_f32_e32 v1, v1
	v_mul_f32_e32 v1, 0x4f7ffffe, v1
	v_cvt_u32_f32_e32 v1, v1
	v_readfirstlane_b32 s3, v1
	s_mul_i32 s0, s0, s3
	s_mul_hi_u32 s0, s3, s0
	s_add_i32 s3, s3, s0
	s_mul_hi_u32 s0, s6, s3
	s_mul_i32 s3, s0, s1
	s_sub_i32 s3, s6, s3
	s_add_i32 s7, s0, 1
	s_sub_i32 s12, s3, s1
	s_cmp_ge_u32 s3, s1
	s_cselect_b32 s0, s7, s0
	s_cselect_b32 s3, s12, s3
	s_add_i32 s7, s0, 1
	s_cmp_ge_u32 s3, s1
	s_cselect_b32 s0, s7, s0
	s_mul_i32 s1, s0, s1
	v_lshl_add_u32 v2, s0, 4, v0
	s_sub_i32 s0, s6, s1
	v_lshl_add_u32 v4, s0, 4, v3
	v_cmp_gt_i32_e32 vcc, s9, v4
	v_cmp_gt_i32_e64 s[0:1], s10, v2
	s_and_b64 s[0:1], vcc, s[0:1]
	s_and_saveexec_b64 s[6:7], s[0:1]
	s_cbranch_execz .LBB58_5
; %bb.1:
	s_load_dwordx4 s[12:15], s[4:5], 0x38
	s_load_dword s1, s[4:5], 0x10
	s_load_dwordx2 s[6:7], s[4:5], 0x48
	s_mov_b32 s3, 0
	s_lshl_b64 s[2:3], s[2:3], 3
	s_waitcnt lgkmcnt(0)
	s_add_u32 s12, s12, s2
	s_addc_u32 s13, s13, s3
	s_load_dwordx2 s[12:13], s[12:13], 0x0
	s_lshl_b64 s[14:15], s[14:15], 3
	v_ashrrev_i32_e32 v5, 31, v4
	v_ashrrev_i32_e32 v3, 31, v2
	v_mul_lo_u32 v6, v2, s7
	s_waitcnt lgkmcnt(0)
	s_add_u32 s9, s12, s14
	s_addc_u32 s10, s13, s15
	v_mul_lo_u32 v7, v3, s6
	v_mad_u64_u32 v[0:1], s[6:7], v2, s6, v[4:5]
	s_or_b32 s0, s11, s1
	v_add3_u32 v1, v7, v1, v6
	s_bitset0_b32 s0, 31
	s_mov_b64 s[6:7], -1
	s_cmp_lg_u32 s0, 0
	v_lshlrev_b64 v[0:1], 3, v[0:1]
	s_cbranch_scc0 .LBB58_3
; %bb.2:
	s_load_dwordx4 s[12:15], s[4:5], 0x18
	s_load_dwordx2 s[6:7], s[4:5], 0x28
	s_waitcnt lgkmcnt(0)
	s_add_u32 s2, s12, s2
	s_addc_u32 s3, s13, s3
	s_load_dwordx2 s[2:3], s[2:3], 0x0
	s_lshl_b64 s[4:5], s[14:15], 3
	s_waitcnt lgkmcnt(0)
	s_add_u32 s0, s2, s4
	s_addc_u32 s4, s3, s5
	s_cmpk_eq_i32 s8, 0x6f
	s_cselect_b64 vcc, -1, 0
	v_cndmask_b32_e32 v6, v4, v2, vcc
	v_cndmask_b32_e32 v7, v5, v3, vcc
	;; [unrolled: 1-line block ×4, first 2 shown]
	v_mul_lo_u32 v8, v6, s7
	v_mad_u64_u32 v[4:5], s[2:3], v6, s6, 0
	v_mul_lo_u32 v6, v7, s6
	v_add3_u32 v5, v5, v8, v6
	v_lshlrev_b64 v[4:5], 3, v[4:5]
	v_mov_b32_e32 v6, s4
	v_add_co_u32_e32 v4, vcc, s0, v4
	v_addc_co_u32_e32 v5, vcc, v6, v5, vcc
	v_lshlrev_b64 v[2:3], 3, v[2:3]
	v_add_co_u32_e32 v2, vcc, v4, v2
	v_addc_co_u32_e32 v3, vcc, v5, v3, vcc
	global_load_dwordx2 v[2:3], v[2:3], off
	s_cmpk_eq_i32 s8, 0x71
	s_cselect_b64 s[2:3], -1, 0
	s_mov_b32 s0, s11
	v_mov_b32_e32 v5, s10
	v_add_co_u32_e32 v4, vcc, s9, v0
	v_addc_co_u32_e32 v5, vcc, v5, v1, vcc
	s_mov_b64 s[6:7], 0
	s_waitcnt vmcnt(0)
	v_cndmask_b32_e64 v6, v3, -v3, s[2:3]
	v_pk_mul_f32 v[6:7], v[6:7], s[0:1] op_sel_hi:[0,1]
	v_pk_fma_f32 v[8:9], v[2:3], s[0:1], v[6:7] op_sel:[0,0,1] op_sel_hi:[1,1,0] neg_lo:[0,0,1] neg_hi:[0,0,1]
	v_pk_fma_f32 v[2:3], v[2:3], s[0:1], v[6:7] op_sel:[0,0,1] op_sel_hi:[0,1,0]
	v_mov_b32_e32 v9, v3
	global_store_dwordx2 v[4:5], v[8:9], off
.LBB58_3:
	s_andn2_b64 vcc, exec, s[6:7]
	s_cbranch_vccnz .LBB58_5
; %bb.4:
	v_mov_b32_e32 v2, s10
	v_add_co_u32_e32 v0, vcc, s9, v0
	v_addc_co_u32_e32 v1, vcc, v2, v1, vcc
	v_mov_b32_e32 v2, 0
	v_mov_b32_e32 v3, v2
	global_store_dwordx2 v[0:1], v[2:3], off
.LBB58_5:
	s_endpgm
	.section	.rodata,"a",@progbits
	.p2align	6, 0x0
	.amdhsa_kernel _ZL27rocblas_geam_2matrix_deviceILi16ELi16E19rocblas_complex_numIfEPKPKS1_PKPS1_Ev18rocblas_operation_iiT1_T2_lllT3_llli
		.amdhsa_group_segment_fixed_size 0
		.amdhsa_private_segment_fixed_size 0
		.amdhsa_kernarg_size 92
		.amdhsa_user_sgpr_count 6
		.amdhsa_user_sgpr_private_segment_buffer 1
		.amdhsa_user_sgpr_dispatch_ptr 0
		.amdhsa_user_sgpr_queue_ptr 0
		.amdhsa_user_sgpr_kernarg_segment_ptr 1
		.amdhsa_user_sgpr_dispatch_id 0
		.amdhsa_user_sgpr_flat_scratch_init 0
		.amdhsa_user_sgpr_kernarg_preload_length 0
		.amdhsa_user_sgpr_kernarg_preload_offset 0
		.amdhsa_user_sgpr_private_segment_size 0
		.amdhsa_uses_dynamic_stack 0
		.amdhsa_system_sgpr_private_segment_wavefront_offset 0
		.amdhsa_system_sgpr_workgroup_id_x 1
		.amdhsa_system_sgpr_workgroup_id_y 0
		.amdhsa_system_sgpr_workgroup_id_z 1
		.amdhsa_system_sgpr_workgroup_info 0
		.amdhsa_system_vgpr_workitem_id 1
		.amdhsa_next_free_vgpr 10
		.amdhsa_next_free_sgpr 16
		.amdhsa_accum_offset 12
		.amdhsa_reserve_vcc 1
		.amdhsa_reserve_flat_scratch 0
		.amdhsa_float_round_mode_32 0
		.amdhsa_float_round_mode_16_64 0
		.amdhsa_float_denorm_mode_32 3
		.amdhsa_float_denorm_mode_16_64 3
		.amdhsa_dx10_clamp 1
		.amdhsa_ieee_mode 1
		.amdhsa_fp16_overflow 0
		.amdhsa_tg_split 0
		.amdhsa_exception_fp_ieee_invalid_op 0
		.amdhsa_exception_fp_denorm_src 0
		.amdhsa_exception_fp_ieee_div_zero 0
		.amdhsa_exception_fp_ieee_overflow 0
		.amdhsa_exception_fp_ieee_underflow 0
		.amdhsa_exception_fp_ieee_inexact 0
		.amdhsa_exception_int_div_zero 0
	.end_amdhsa_kernel
	.section	.text._ZL27rocblas_geam_2matrix_deviceILi16ELi16E19rocblas_complex_numIfEPKPKS1_PKPS1_Ev18rocblas_operation_iiT1_T2_lllT3_llli,"axG",@progbits,_ZL27rocblas_geam_2matrix_deviceILi16ELi16E19rocblas_complex_numIfEPKPKS1_PKPS1_Ev18rocblas_operation_iiT1_T2_lllT3_llli,comdat
.Lfunc_end58:
	.size	_ZL27rocblas_geam_2matrix_deviceILi16ELi16E19rocblas_complex_numIfEPKPKS1_PKPS1_Ev18rocblas_operation_iiT1_T2_lllT3_llli, .Lfunc_end58-_ZL27rocblas_geam_2matrix_deviceILi16ELi16E19rocblas_complex_numIfEPKPKS1_PKPS1_Ev18rocblas_operation_iiT1_T2_lllT3_llli
                                        ; -- End function
	.section	.AMDGPU.csdata,"",@progbits
; Kernel info:
; codeLenInByte = 592
; NumSgprs: 20
; NumVgprs: 10
; NumAgprs: 0
; TotalNumVgprs: 10
; ScratchSize: 0
; MemoryBound: 0
; FloatMode: 240
; IeeeMode: 1
; LDSByteSize: 0 bytes/workgroup (compile time only)
; SGPRBlocks: 2
; VGPRBlocks: 1
; NumSGPRsForWavesPerEU: 20
; NumVGPRsForWavesPerEU: 10
; AccumOffset: 12
; Occupancy: 8
; WaveLimiterHint : 1
; COMPUTE_PGM_RSRC2:SCRATCH_EN: 0
; COMPUTE_PGM_RSRC2:USER_SGPR: 6
; COMPUTE_PGM_RSRC2:TRAP_HANDLER: 0
; COMPUTE_PGM_RSRC2:TGID_X_EN: 1
; COMPUTE_PGM_RSRC2:TGID_Y_EN: 0
; COMPUTE_PGM_RSRC2:TGID_Z_EN: 1
; COMPUTE_PGM_RSRC2:TIDIG_COMP_CNT: 1
; COMPUTE_PGM_RSRC3_GFX90A:ACCUM_OFFSET: 2
; COMPUTE_PGM_RSRC3_GFX90A:TG_SPLIT: 0
	.section	.text._ZL22rocblas_geam_1D_deviceILi256E19rocblas_complex_numIfEPKPKS1_PKPS1_EvmT0_T1_llS9_SA_llT2_lli,"axG",@progbits,_ZL22rocblas_geam_1D_deviceILi256E19rocblas_complex_numIfEPKPKS1_PKPS1_EvmT0_T1_llS9_SA_llT2_lli,comdat
	.globl	_ZL22rocblas_geam_1D_deviceILi256E19rocblas_complex_numIfEPKPKS1_PKPS1_EvmT0_T1_llS9_SA_llT2_lli ; -- Begin function _ZL22rocblas_geam_1D_deviceILi256E19rocblas_complex_numIfEPKPKS1_PKPS1_EvmT0_T1_llS9_SA_llT2_lli
	.p2align	8
	.type	_ZL22rocblas_geam_1D_deviceILi256E19rocblas_complex_numIfEPKPKS1_PKPS1_EvmT0_T1_llS9_SA_llT2_lli,@function
_ZL22rocblas_geam_1D_deviceILi256E19rocblas_complex_numIfEPKPKS1_PKPS1_EvmT0_T1_llS9_SA_llT2_lli: ; @_ZL22rocblas_geam_1D_deviceILi256E19rocblas_complex_numIfEPKPKS1_PKPS1_EvmT0_T1_llS9_SA_llT2_lli
; %bb.0:
	s_load_dword s1, s[4:5], 0x74
	s_load_dwordx2 s[2:3], s[4:5], 0x0
	v_mov_b32_e32 v1, 0
	v_mov_b32_e32 v2, s6
	s_mov_b32 s0, s7
	s_waitcnt lgkmcnt(0)
	s_and_b32 s1, s1, 0xffff
	v_mad_u64_u32 v[0:1], s[6:7], s1, v2, v[0:1]
	v_cmp_gt_u64_e32 vcc, s[2:3], v[0:1]
	s_and_saveexec_b64 s[2:3], vcc
	s_cbranch_execz .LBB59_13
; %bb.1:
	s_load_dwordx4 s[12:15], s[4:5], 0x48
	s_mov_b32 s1, 0
	s_lshl_b64 s[8:9], s[0:1], 3
	s_load_dwordx2 s[0:1], s[4:5], 0x8
	s_waitcnt lgkmcnt(0)
	s_add_u32 s6, s12, s8
	s_addc_u32 s7, s13, s9
	s_load_dwordx2 s[10:11], s[6:7], 0x0
	s_load_dwordx2 s[2:3], s[4:5], 0x28
	s_lshl_b64 s[12:13], s[14:15], 3
	v_cmp_eq_f32_e64 s[6:7], s0, 0
	v_cmp_eq_f32_e64 s[16:17], s1, 0
	s_waitcnt lgkmcnt(0)
	s_add_u32 s12, s10, s12
	s_addc_u32 s13, s11, s13
	v_cmp_eq_f32_e64 s[10:11], s2, 0
	v_cmp_eq_f32_e64 s[14:15], s3, 0
	s_and_b64 s[6:7], s[6:7], s[16:17]
	s_and_b64 s[10:11], s[10:11], s[14:15]
	;; [unrolled: 1-line block ×3, first 2 shown]
	s_andn2_b64 vcc, exec, s[6:7]
	s_mov_b64 s[6:7], -1
	s_cbranch_vccz .LBB59_11
; %bb.2:
	s_or_b32 s6, s0, s1
	s_bitset0_b32 s6, 31
	s_mov_b64 s[10:11], 0
	s_cmp_eq_u32 s6, 0
	s_mov_b64 s[6:7], 0
	s_cbranch_scc1 .LBB59_4
; %bb.3:
	s_load_dwordx4 s[16:19], s[4:5], 0x10
	s_waitcnt lgkmcnt(0)
	s_add_u32 s6, s16, s8
	s_addc_u32 s7, s17, s9
	s_load_dwordx2 s[6:7], s[6:7], 0x0
	s_lshl_b64 s[14:15], s[18:19], 3
	s_waitcnt lgkmcnt(0)
	s_add_u32 s6, s6, s14
	s_addc_u32 s7, s7, s15
.LBB59_4:
	s_or_b32 s14, s2, s3
	s_bitset0_b32 s14, 31
	s_cmp_eq_u32 s14, 0
	s_cbranch_scc1 .LBB59_6
; %bb.5:
	s_load_dwordx4 s[16:19], s[4:5], 0x30
	s_waitcnt lgkmcnt(0)
	s_add_u32 s4, s16, s8
	s_addc_u32 s5, s17, s9
	s_load_dwordx2 s[4:5], s[4:5], 0x0
	s_lshl_b64 s[8:9], s[18:19], 3
	s_waitcnt lgkmcnt(0)
	s_add_u32 s10, s4, s8
	s_addc_u32 s11, s5, s9
.LBB59_6:
	v_cmp_neq_f32_e64 s[4:5], s2, 0
	v_cmp_neq_f32_e64 s[8:9], s3, 0
	s_or_b64 s[4:5], s[4:5], s[8:9]
	v_mov_b32_e32 v2, 0
	s_andn2_b64 vcc, exec, s[4:5]
	v_mov_b32_e32 v3, 0
	v_mov_b32_e32 v4, 0
	s_cbranch_vccnz .LBB59_8
; %bb.7:
	v_lshlrev_b64 v[4:5], 3, v[0:1]
	v_mov_b32_e32 v3, s11
	v_add_co_u32_e32 v4, vcc, s10, v4
	v_addc_co_u32_e32 v5, vcc, v3, v5, vcc
	flat_load_dwordx2 v[4:5], v[4:5]
	s_waitcnt vmcnt(0) lgkmcnt(0)
	v_mul_f32_e32 v3, s2, v4
	v_pk_mul_f32 v[6:7], v[4:5], s[2:3] op_sel:[0,1] op_sel_hi:[1,0]
	v_fma_f32 v4, -v5, s3, v3
	v_add_f32_e32 v3, v6, v7
.LBB59_8:
	v_cmp_neq_f32_e64 s[2:3], s0, 0
	v_cmp_neq_f32_e64 s[4:5], s1, 0
	s_or_b64 s[2:3], s[2:3], s[4:5]
	s_andn2_b64 vcc, exec, s[2:3]
	v_mov_b32_e32 v5, 0
	s_cbranch_vccnz .LBB59_10
; %bb.9:
	v_lshlrev_b64 v[6:7], 3, v[0:1]
	v_mov_b32_e32 v2, s7
	v_add_co_u32_e32 v6, vcc, s6, v6
	v_addc_co_u32_e32 v7, vcc, v2, v7, vcc
	flat_load_dwordx2 v[6:7], v[6:7]
	s_waitcnt vmcnt(0) lgkmcnt(0)
	v_mul_f32_e32 v2, s0, v6
	v_pk_mul_f32 v[8:9], v[6:7], s[0:1] op_sel:[0,1] op_sel_hi:[1,0]
	v_fma_f32 v5, -v7, s1, v2
	v_add_f32_e32 v2, v8, v9
.LBB59_10:
	v_add_f32_e32 v4, v4, v5
	v_add_f32_e32 v5, v3, v2
	v_lshlrev_b64 v[2:3], 3, v[0:1]
	v_mov_b32_e32 v6, s13
	v_add_co_u32_e32 v2, vcc, s12, v2
	v_addc_co_u32_e32 v3, vcc, v6, v3, vcc
	s_mov_b64 s[6:7], 0
	global_store_dwordx2 v[2:3], v[4:5], off
.LBB59_11:
	s_and_b64 vcc, exec, s[6:7]
	s_cbranch_vccz .LBB59_13
; %bb.12:
	v_lshlrev_b64 v[0:1], 3, v[0:1]
	v_mov_b32_e32 v2, s13
	v_add_co_u32_e32 v0, vcc, s12, v0
	v_addc_co_u32_e32 v1, vcc, v2, v1, vcc
	v_mov_b32_e32 v2, 0
	v_mov_b32_e32 v3, v2
	global_store_dwordx2 v[0:1], v[2:3], off
.LBB59_13:
	s_endpgm
	.section	.rodata,"a",@progbits
	.p2align	6, 0x0
	.amdhsa_kernel _ZL22rocblas_geam_1D_deviceILi256E19rocblas_complex_numIfEPKPKS1_PKPS1_EvmT0_T1_llS9_SA_llT2_lli
		.amdhsa_group_segment_fixed_size 0
		.amdhsa_private_segment_fixed_size 0
		.amdhsa_kernarg_size 360
		.amdhsa_user_sgpr_count 6
		.amdhsa_user_sgpr_private_segment_buffer 1
		.amdhsa_user_sgpr_dispatch_ptr 0
		.amdhsa_user_sgpr_queue_ptr 0
		.amdhsa_user_sgpr_kernarg_segment_ptr 1
		.amdhsa_user_sgpr_dispatch_id 0
		.amdhsa_user_sgpr_flat_scratch_init 0
		.amdhsa_user_sgpr_kernarg_preload_length 0
		.amdhsa_user_sgpr_kernarg_preload_offset 0
		.amdhsa_user_sgpr_private_segment_size 0
		.amdhsa_uses_dynamic_stack 0
		.amdhsa_system_sgpr_private_segment_wavefront_offset 0
		.amdhsa_system_sgpr_workgroup_id_x 1
		.amdhsa_system_sgpr_workgroup_id_y 0
		.amdhsa_system_sgpr_workgroup_id_z 1
		.amdhsa_system_sgpr_workgroup_info 0
		.amdhsa_system_vgpr_workitem_id 0
		.amdhsa_next_free_vgpr 10
		.amdhsa_next_free_sgpr 20
		.amdhsa_accum_offset 12
		.amdhsa_reserve_vcc 1
		.amdhsa_reserve_flat_scratch 0
		.amdhsa_float_round_mode_32 0
		.amdhsa_float_round_mode_16_64 0
		.amdhsa_float_denorm_mode_32 3
		.amdhsa_float_denorm_mode_16_64 3
		.amdhsa_dx10_clamp 1
		.amdhsa_ieee_mode 1
		.amdhsa_fp16_overflow 0
		.amdhsa_tg_split 0
		.amdhsa_exception_fp_ieee_invalid_op 0
		.amdhsa_exception_fp_denorm_src 0
		.amdhsa_exception_fp_ieee_div_zero 0
		.amdhsa_exception_fp_ieee_overflow 0
		.amdhsa_exception_fp_ieee_underflow 0
		.amdhsa_exception_fp_ieee_inexact 0
		.amdhsa_exception_int_div_zero 0
	.end_amdhsa_kernel
	.section	.text._ZL22rocblas_geam_1D_deviceILi256E19rocblas_complex_numIfEPKPKS1_PKPS1_EvmT0_T1_llS9_SA_llT2_lli,"axG",@progbits,_ZL22rocblas_geam_1D_deviceILi256E19rocblas_complex_numIfEPKPKS1_PKPS1_EvmT0_T1_llS9_SA_llT2_lli,comdat
.Lfunc_end59:
	.size	_ZL22rocblas_geam_1D_deviceILi256E19rocblas_complex_numIfEPKPKS1_PKPS1_EvmT0_T1_llS9_SA_llT2_lli, .Lfunc_end59-_ZL22rocblas_geam_1D_deviceILi256E19rocblas_complex_numIfEPKPKS1_PKPS1_EvmT0_T1_llS9_SA_llT2_lli
                                        ; -- End function
	.section	.AMDGPU.csdata,"",@progbits
; Kernel info:
; codeLenInByte = 584
; NumSgprs: 24
; NumVgprs: 10
; NumAgprs: 0
; TotalNumVgprs: 10
; ScratchSize: 0
; MemoryBound: 0
; FloatMode: 240
; IeeeMode: 1
; LDSByteSize: 0 bytes/workgroup (compile time only)
; SGPRBlocks: 2
; VGPRBlocks: 1
; NumSGPRsForWavesPerEU: 24
; NumVGPRsForWavesPerEU: 10
; AccumOffset: 12
; Occupancy: 8
; WaveLimiterHint : 1
; COMPUTE_PGM_RSRC2:SCRATCH_EN: 0
; COMPUTE_PGM_RSRC2:USER_SGPR: 6
; COMPUTE_PGM_RSRC2:TRAP_HANDLER: 0
; COMPUTE_PGM_RSRC2:TGID_X_EN: 1
; COMPUTE_PGM_RSRC2:TGID_Y_EN: 0
; COMPUTE_PGM_RSRC2:TGID_Z_EN: 1
; COMPUTE_PGM_RSRC2:TIDIG_COMP_CNT: 0
; COMPUTE_PGM_RSRC3_GFX90A:ACCUM_OFFSET: 2
; COMPUTE_PGM_RSRC3_GFX90A:TG_SPLIT: 0
	.section	.text._ZL22rocblas_geam_1D_deviceILi256EPK19rocblas_complex_numIfEPKS3_PKPS1_EvmT0_T1_llS9_SA_llT2_lli,"axG",@progbits,_ZL22rocblas_geam_1D_deviceILi256EPK19rocblas_complex_numIfEPKS3_PKPS1_EvmT0_T1_llS9_SA_llT2_lli,comdat
	.globl	_ZL22rocblas_geam_1D_deviceILi256EPK19rocblas_complex_numIfEPKS3_PKPS1_EvmT0_T1_llS9_SA_llT2_lli ; -- Begin function _ZL22rocblas_geam_1D_deviceILi256EPK19rocblas_complex_numIfEPKS3_PKPS1_EvmT0_T1_llS9_SA_llT2_lli
	.p2align	8
	.type	_ZL22rocblas_geam_1D_deviceILi256EPK19rocblas_complex_numIfEPKS3_PKPS1_EvmT0_T1_llS9_SA_llT2_lli,@function
_ZL22rocblas_geam_1D_deviceILi256EPK19rocblas_complex_numIfEPKS3_PKPS1_EvmT0_T1_llS9_SA_llT2_lli: ; @_ZL22rocblas_geam_1D_deviceILi256EPK19rocblas_complex_numIfEPKS3_PKPS1_EvmT0_T1_llS9_SA_llT2_lli
; %bb.0:
	s_load_dword s0, s[4:5], 0x74
	s_load_dwordx8 s[8:15], s[4:5], 0x0
	v_mov_b32_e32 v1, 0
	v_mov_b32_e32 v2, s6
	s_waitcnt lgkmcnt(0)
	s_and_b32 s0, s0, 0xffff
	v_mad_u64_u32 v[0:1], s[0:1], s0, v2, v[0:1]
	v_cmp_gt_u64_e32 vcc, s[8:9], v[0:1]
	s_and_saveexec_b64 s[0:1], vcc
	s_cbranch_execz .LBB60_13
; %bb.1:
	s_mov_b32 s16, s7
	s_load_dwordx4 s[20:23], s[4:5], 0x48
	s_load_dwordx4 s[0:3], s[4:5], 0x28
	s_load_dwordx2 s[6:7], s[10:11], 0x0
	s_mov_b32 s17, 0
	s_lshl_b64 s[10:11], s[16:17], 3
	s_waitcnt lgkmcnt(0)
	s_add_u32 s16, s20, s10
	s_addc_u32 s17, s21, s11
	s_load_dwordx2 s[18:19], s[16:17], 0x0
	s_load_dwordx2 s[8:9], s[0:1], 0x0
	s_lshl_b64 s[20:21], s[22:23], 3
	v_cmp_eq_f32_e64 s[0:1], s6, 0
	v_cmp_eq_f32_e64 s[16:17], s7, 0
	s_waitcnt lgkmcnt(0)
	s_add_u32 s18, s18, s20
	s_addc_u32 s19, s19, s21
	s_and_b64 s[0:1], s[0:1], s[16:17]
	v_cmp_eq_f32_e64 s[16:17], s8, 0
	v_cmp_eq_f32_e64 s[20:21], s9, 0
	s_and_b64 s[16:17], s[16:17], s[20:21]
	s_and_b64 s[0:1], s[0:1], s[16:17]
	s_andn2_b64 vcc, exec, s[0:1]
	s_mov_b64 s[0:1], -1
	s_cbranch_vccz .LBB60_11
; %bb.2:
	s_or_b32 s0, s6, s7
	s_bitset0_b32 s0, 31
	s_mov_b64 s[16:17], 0
	s_cmp_eq_u32 s0, 0
	s_mov_b64 s[0:1], 0
	s_cbranch_scc1 .LBB60_4
; %bb.3:
	s_add_u32 s0, s12, s10
	s_addc_u32 s1, s13, s11
	s_load_dwordx2 s[0:1], s[0:1], 0x0
	s_lshl_b64 s[12:13], s[14:15], 3
	s_waitcnt lgkmcnt(0)
	s_add_u32 s0, s0, s12
	s_addc_u32 s1, s1, s13
.LBB60_4:
	s_or_b32 s12, s8, s9
	s_bitset0_b32 s12, 31
	s_cmp_eq_u32 s12, 0
	s_cbranch_scc1 .LBB60_6
; %bb.5:
	s_add_u32 s2, s2, s10
	s_load_dwordx2 s[4:5], s[4:5], 0x38
	s_addc_u32 s3, s3, s11
	s_load_dwordx2 s[2:3], s[2:3], 0x0
	s_waitcnt lgkmcnt(0)
	s_lshl_b64 s[4:5], s[4:5], 3
	s_add_u32 s16, s2, s4
	s_addc_u32 s17, s3, s5
.LBB60_6:
	v_cmp_neq_f32_e64 s[2:3], s8, 0
	v_cmp_neq_f32_e64 s[4:5], s9, 0
	s_or_b64 s[2:3], s[2:3], s[4:5]
	v_mov_b32_e32 v2, 0
	s_andn2_b64 vcc, exec, s[2:3]
	v_mov_b32_e32 v3, 0
	v_mov_b32_e32 v4, 0
	s_cbranch_vccnz .LBB60_8
; %bb.7:
	v_lshlrev_b64 v[4:5], 3, v[0:1]
	v_mov_b32_e32 v3, s17
	v_add_co_u32_e32 v4, vcc, s16, v4
	v_addc_co_u32_e32 v5, vcc, v3, v5, vcc
	flat_load_dwordx2 v[4:5], v[4:5]
	s_waitcnt vmcnt(0) lgkmcnt(0)
	v_mul_f32_e32 v3, s8, v4
	v_pk_mul_f32 v[6:7], v[4:5], s[8:9] op_sel:[0,1] op_sel_hi:[1,0]
	v_fma_f32 v4, -v5, s9, v3
	v_add_f32_e32 v3, v6, v7
.LBB60_8:
	v_cmp_neq_f32_e64 s[2:3], s6, 0
	v_cmp_neq_f32_e64 s[4:5], s7, 0
	s_or_b64 s[2:3], s[2:3], s[4:5]
	s_andn2_b64 vcc, exec, s[2:3]
	v_mov_b32_e32 v5, 0
	s_cbranch_vccnz .LBB60_10
; %bb.9:
	v_lshlrev_b64 v[6:7], 3, v[0:1]
	v_mov_b32_e32 v2, s1
	v_add_co_u32_e32 v6, vcc, s0, v6
	v_addc_co_u32_e32 v7, vcc, v2, v7, vcc
	flat_load_dwordx2 v[6:7], v[6:7]
	s_waitcnt vmcnt(0) lgkmcnt(0)
	v_mul_f32_e32 v2, s6, v6
	v_pk_mul_f32 v[8:9], v[6:7], s[6:7] op_sel:[0,1] op_sel_hi:[1,0]
	v_fma_f32 v5, -v7, s7, v2
	v_add_f32_e32 v2, v8, v9
.LBB60_10:
	v_add_f32_e32 v4, v4, v5
	v_add_f32_e32 v5, v3, v2
	v_lshlrev_b64 v[2:3], 3, v[0:1]
	v_mov_b32_e32 v6, s19
	v_add_co_u32_e32 v2, vcc, s18, v2
	v_addc_co_u32_e32 v3, vcc, v6, v3, vcc
	s_mov_b64 s[0:1], 0
	global_store_dwordx2 v[2:3], v[4:5], off
.LBB60_11:
	s_and_b64 vcc, exec, s[0:1]
	s_cbranch_vccz .LBB60_13
; %bb.12:
	v_lshlrev_b64 v[0:1], 3, v[0:1]
	v_mov_b32_e32 v2, s19
	v_add_co_u32_e32 v0, vcc, s18, v0
	v_addc_co_u32_e32 v1, vcc, v2, v1, vcc
	v_mov_b32_e32 v2, 0
	v_mov_b32_e32 v3, v2
	global_store_dwordx2 v[0:1], v[2:3], off
.LBB60_13:
	s_endpgm
	.section	.rodata,"a",@progbits
	.p2align	6, 0x0
	.amdhsa_kernel _ZL22rocblas_geam_1D_deviceILi256EPK19rocblas_complex_numIfEPKS3_PKPS1_EvmT0_T1_llS9_SA_llT2_lli
		.amdhsa_group_segment_fixed_size 0
		.amdhsa_private_segment_fixed_size 0
		.amdhsa_kernarg_size 360
		.amdhsa_user_sgpr_count 6
		.amdhsa_user_sgpr_private_segment_buffer 1
		.amdhsa_user_sgpr_dispatch_ptr 0
		.amdhsa_user_sgpr_queue_ptr 0
		.amdhsa_user_sgpr_kernarg_segment_ptr 1
		.amdhsa_user_sgpr_dispatch_id 0
		.amdhsa_user_sgpr_flat_scratch_init 0
		.amdhsa_user_sgpr_kernarg_preload_length 0
		.amdhsa_user_sgpr_kernarg_preload_offset 0
		.amdhsa_user_sgpr_private_segment_size 0
		.amdhsa_uses_dynamic_stack 0
		.amdhsa_system_sgpr_private_segment_wavefront_offset 0
		.amdhsa_system_sgpr_workgroup_id_x 1
		.amdhsa_system_sgpr_workgroup_id_y 0
		.amdhsa_system_sgpr_workgroup_id_z 1
		.amdhsa_system_sgpr_workgroup_info 0
		.amdhsa_system_vgpr_workitem_id 0
		.amdhsa_next_free_vgpr 10
		.amdhsa_next_free_sgpr 24
		.amdhsa_accum_offset 12
		.amdhsa_reserve_vcc 1
		.amdhsa_reserve_flat_scratch 0
		.amdhsa_float_round_mode_32 0
		.amdhsa_float_round_mode_16_64 0
		.amdhsa_float_denorm_mode_32 3
		.amdhsa_float_denorm_mode_16_64 3
		.amdhsa_dx10_clamp 1
		.amdhsa_ieee_mode 1
		.amdhsa_fp16_overflow 0
		.amdhsa_tg_split 0
		.amdhsa_exception_fp_ieee_invalid_op 0
		.amdhsa_exception_fp_denorm_src 0
		.amdhsa_exception_fp_ieee_div_zero 0
		.amdhsa_exception_fp_ieee_overflow 0
		.amdhsa_exception_fp_ieee_underflow 0
		.amdhsa_exception_fp_ieee_inexact 0
		.amdhsa_exception_int_div_zero 0
	.end_amdhsa_kernel
	.section	.text._ZL22rocblas_geam_1D_deviceILi256EPK19rocblas_complex_numIfEPKS3_PKPS1_EvmT0_T1_llS9_SA_llT2_lli,"axG",@progbits,_ZL22rocblas_geam_1D_deviceILi256EPK19rocblas_complex_numIfEPKS3_PKPS1_EvmT0_T1_llS9_SA_llT2_lli,comdat
.Lfunc_end60:
	.size	_ZL22rocblas_geam_1D_deviceILi256EPK19rocblas_complex_numIfEPKS3_PKPS1_EvmT0_T1_llS9_SA_llT2_lli, .Lfunc_end60-_ZL22rocblas_geam_1D_deviceILi256EPK19rocblas_complex_numIfEPKS3_PKPS1_EvmT0_T1_llS9_SA_llT2_lli
                                        ; -- End function
	.section	.AMDGPU.csdata,"",@progbits
; Kernel info:
; codeLenInByte = 576
; NumSgprs: 28
; NumVgprs: 10
; NumAgprs: 0
; TotalNumVgprs: 10
; ScratchSize: 0
; MemoryBound: 0
; FloatMode: 240
; IeeeMode: 1
; LDSByteSize: 0 bytes/workgroup (compile time only)
; SGPRBlocks: 3
; VGPRBlocks: 1
; NumSGPRsForWavesPerEU: 28
; NumVGPRsForWavesPerEU: 10
; AccumOffset: 12
; Occupancy: 8
; WaveLimiterHint : 1
; COMPUTE_PGM_RSRC2:SCRATCH_EN: 0
; COMPUTE_PGM_RSRC2:USER_SGPR: 6
; COMPUTE_PGM_RSRC2:TRAP_HANDLER: 0
; COMPUTE_PGM_RSRC2:TGID_X_EN: 1
; COMPUTE_PGM_RSRC2:TGID_Y_EN: 0
; COMPUTE_PGM_RSRC2:TGID_Z_EN: 1
; COMPUTE_PGM_RSRC2:TIDIG_COMP_CNT: 0
; COMPUTE_PGM_RSRC3_GFX90A:ACCUM_OFFSET: 2
; COMPUTE_PGM_RSRC3_GFX90A:TG_SPLIT: 0
	.section	.text._ZL19rocblas_geam_deviceILi16ELi16E19rocblas_complex_numIfEPKPKS1_PKPS1_Ev18rocblas_operation_S9_iiT1_T2_lllSA_SB_lllT3_llli,"axG",@progbits,_ZL19rocblas_geam_deviceILi16ELi16E19rocblas_complex_numIfEPKPKS1_PKPS1_Ev18rocblas_operation_S9_iiT1_T2_lllSA_SB_lllT3_llli,comdat
	.globl	_ZL19rocblas_geam_deviceILi16ELi16E19rocblas_complex_numIfEPKPKS1_PKPS1_Ev18rocblas_operation_S9_iiT1_T2_lllSA_SB_lllT3_llli ; -- Begin function _ZL19rocblas_geam_deviceILi16ELi16E19rocblas_complex_numIfEPKPKS1_PKPS1_Ev18rocblas_operation_S9_iiT1_T2_lllSA_SB_lllT3_llli
	.p2align	8
	.type	_ZL19rocblas_geam_deviceILi16ELi16E19rocblas_complex_numIfEPKPKS1_PKPS1_Ev18rocblas_operation_S9_iiT1_T2_lllSA_SB_lllT3_llli,@function
_ZL19rocblas_geam_deviceILi16ELi16E19rocblas_complex_numIfEPKPKS1_PKPS1_Ev18rocblas_operation_S9_iiT1_T2_lllSA_SB_lllT3_llli: ; @_ZL19rocblas_geam_deviceILi16ELi16E19rocblas_complex_numIfEPKPKS1_PKPS1_Ev18rocblas_operation_S9_iiT1_T2_lllSA_SB_lllT3_llli
; %bb.0:
	s_load_dwordx4 s[8:11], s[4:5], 0x0
	s_mov_b32 s12, s7
	v_and_b32_e32 v2, 0x3ff, v0
	v_bfe_u32 v0, v0, 10, 10
	s_waitcnt lgkmcnt(0)
	s_add_i32 s0, s10, -1
	s_ashr_i32 s1, s0, 31
	s_lshr_b32 s1, s1, 28
	s_add_i32 s0, s0, s1
	s_ashr_i32 s0, s0, 4
	s_add_i32 s1, s0, 1
	v_cvt_f32_u32_e32 v1, s1
	s_not_b32 s0, s0
	v_rcp_iflag_f32_e32 v1, v1
	v_mul_f32_e32 v1, 0x4f7ffffe, v1
	v_cvt_u32_f32_e32 v1, v1
	v_readfirstlane_b32 s2, v1
	s_mul_i32 s0, s0, s2
	s_mul_hi_u32 s0, s2, s0
	s_add_i32 s2, s2, s0
	s_mul_hi_u32 s0, s6, s2
	s_mul_i32 s2, s0, s1
	s_sub_i32 s2, s6, s2
	s_add_i32 s3, s0, 1
	s_sub_i32 s7, s2, s1
	s_cmp_ge_u32 s2, s1
	s_cselect_b32 s0, s3, s0
	s_cselect_b32 s2, s7, s2
	s_add_i32 s3, s0, 1
	s_cmp_ge_u32 s2, s1
	s_cselect_b32 s0, s3, s0
	s_mul_i32 s1, s0, s1
	v_lshl_add_u32 v6, s0, 4, v0
	s_sub_i32 s0, s6, s1
	v_lshl_add_u32 v0, s0, 4, v2
	v_cmp_gt_i32_e32 vcc, s10, v0
	v_cmp_gt_i32_e64 s[0:1], s11, v6
	s_and_b64 s[0:1], vcc, s[0:1]
	s_and_saveexec_b64 s[2:3], s[0:1]
	s_cbranch_execz .LBB61_12
; %bb.1:
	s_load_dwordx2 s[6:7], s[4:5], 0x10
	s_load_dwordx4 s[0:3], s[4:5], 0x18
	s_load_dwordx2 s[14:15], s[4:5], 0x28
	s_load_dwordx2 s[10:11], s[4:5], 0x38
	s_waitcnt lgkmcnt(0)
	s_or_b32 s13, s6, s7
	s_and_b32 s16, s13, 0x7fffffff
	s_cmp_lg_u32 s16, 0
	s_cselect_b64 s[16:17], -1, 0
	s_mov_b32 s13, 0
	s_and_b64 vcc, exec, s[16:17]
	s_cbranch_vccnz .LBB61_3
; %bb.2:
	s_mov_b64 s[18:19], 0
	s_cbranch_execz .LBB61_4
	s_branch .LBB61_5
.LBB61_3:
                                        ; implicit-def: $sgpr18_sgpr19
.LBB61_4:
	s_lshl_b64 s[18:19], s[12:13], 3
	s_add_u32 s0, s0, s18
	s_addc_u32 s1, s1, s19
	s_load_dwordx2 s[0:1], s[0:1], 0x0
	s_lshl_b64 s[2:3], s[2:3], 3
	s_waitcnt lgkmcnt(0)
	s_add_u32 s18, s0, s2
	s_addc_u32 s19, s1, s3
.LBB61_5:
	s_load_dwordx4 s[0:3], s[4:5], 0x40
	s_load_dwordx2 s[20:21], s[4:5], 0x50
	s_or_b32 s22, s10, s11
	s_bitset0_b32 s22, 31
	s_cmp_lg_u32 s22, 0
	s_cselect_b64 s[26:27], -1, 0
	s_cmp_eq_u32 s22, 0
	s_mov_b64 s[24:25], 0
	s_cbranch_scc1 .LBB61_7
; %bb.6:
	s_lshl_b64 s[22:23], s[12:13], 3
	s_waitcnt lgkmcnt(0)
	s_add_u32 s0, s0, s22
	s_addc_u32 s1, s1, s23
	s_load_dwordx2 s[0:1], s[0:1], 0x0
	s_lshl_b64 s[2:3], s[2:3], 3
	s_waitcnt lgkmcnt(0)
	s_add_u32 s24, s0, s2
	s_addc_u32 s25, s1, s3
.LBB61_7:
	s_waitcnt lgkmcnt(0)
	s_load_dwordx4 s[0:3], s[4:5], 0x60
	s_load_dwordx2 s[22:23], s[4:5], 0x70
	s_lshl_b64 s[4:5], s[12:13], 3
	v_ashrrev_i32_e32 v1, 31, v0
	v_ashrrev_i32_e32 v7, 31, v6
	s_waitcnt lgkmcnt(0)
	s_add_u32 s0, s0, s4
	s_addc_u32 s1, s1, s5
	s_load_dwordx2 s[0:1], s[0:1], 0x0
	s_andn2_b64 vcc, exec, s[16:17]
	v_mov_b32_e32 v4, 0
	v_mov_b32_e32 v2, 0
	;; [unrolled: 1-line block ×3, first 2 shown]
	s_cbranch_vccnz .LBB61_9
; %bb.8:
	s_cmpk_eq_i32 s8, 0x6f
	s_cselect_b64 vcc, -1, 0
	v_cndmask_b32_e32 v5, v1, v7, vcc
	v_cndmask_b32_e32 v8, v0, v6, vcc
	;; [unrolled: 1-line block ×4, first 2 shown]
	v_mad_u64_u32 v[2:3], s[4:5], v8, s14, v[2:3]
	v_mul_lo_u32 v8, v8, s15
	v_mul_lo_u32 v5, v5, s14
	v_add3_u32 v3, v5, v3, v8
	v_lshlrev_b64 v[2:3], 3, v[2:3]
	v_mov_b32_e32 v5, s19
	v_add_co_u32_e32 v2, vcc, s18, v2
	v_addc_co_u32_e32 v3, vcc, v5, v3, vcc
	flat_load_dwordx2 v[2:3], v[2:3]
.LBB61_9:
	s_andn2_b64 vcc, exec, s[26:27]
	v_mov_b32_e32 v5, 0
	s_cbranch_vccnz .LBB61_11
; %bb.10:
	s_cmpk_eq_i32 s9, 0x6f
	s_cselect_b64 vcc, -1, 0
	v_cndmask_b32_e32 v8, v1, v7, vcc
	v_cndmask_b32_e32 v9, v0, v6, vcc
	;; [unrolled: 1-line block ×4, first 2 shown]
	v_mad_u64_u32 v[4:5], s[4:5], v9, s20, v[4:5]
	v_mul_lo_u32 v9, v9, s21
	v_mul_lo_u32 v8, v8, s20
	v_add3_u32 v5, v8, v5, v9
	v_lshlrev_b64 v[4:5], 3, v[4:5]
	v_mov_b32_e32 v8, s25
	v_add_co_u32_e32 v4, vcc, s24, v4
	v_addc_co_u32_e32 v5, vcc, v8, v5, vcc
	flat_load_dwordx2 v[4:5], v[4:5]
.LBB61_11:
	s_lshl_b64 s[2:3], s[2:3], 3
	s_waitcnt lgkmcnt(0)
	s_add_u32 s2, s0, s2
	s_addc_u32 s3, s1, s3
	v_mul_lo_u32 v8, v7, s22
	v_mul_lo_u32 v9, v6, s23
	v_mad_u64_u32 v[6:7], s[0:1], v6, s22, 0
	s_cmpk_eq_i32 s8, 0x71
	v_add3_u32 v7, v7, v9, v8
	s_cselect_b64 s[0:1], -1, 0
	s_cmpk_eq_i32 s9, 0x71
	s_waitcnt vmcnt(0)
	v_cndmask_b32_e64 v8, v3, -v3, s[0:1]
	s_cselect_b64 s[0:1], -1, 0
	v_lshlrev_b64 v[6:7], 3, v[6:7]
	v_cndmask_b32_e64 v10, v5, -v5, s[0:1]
	v_mov_b32_e32 v3, s3
	v_add_co_u32_e32 v5, vcc, s2, v6
	v_addc_co_u32_e32 v3, vcc, v3, v7, vcc
	v_lshlrev_b64 v[0:1], 3, v[0:1]
	v_pk_mul_f32 v[6:7], v[10:11], s[10:11] op_sel_hi:[0,1]
	v_add_co_u32_e32 v0, vcc, v5, v0
	v_pk_fma_f32 v[10:11], v[4:5], s[10:11], v[6:7] op_sel:[0,0,1] op_sel_hi:[1,1,0] neg_lo:[0,0,1] neg_hi:[0,0,1]
	v_pk_fma_f32 v[4:5], v[4:5], s[10:11], v[6:7] op_sel:[0,0,1] op_sel_hi:[0,1,0]
	v_mov_b32_e32 v11, v5
	v_pk_mul_f32 v[4:5], v[8:9], s[6:7] op_sel_hi:[0,1]
	v_addc_co_u32_e32 v1, vcc, v3, v1, vcc
	v_pk_fma_f32 v[6:7], v[2:3], s[6:7], v[4:5] op_sel:[0,0,1] op_sel_hi:[1,1,0] neg_lo:[0,0,1] neg_hi:[0,0,1]
	v_pk_fma_f32 v[2:3], v[2:3], s[6:7], v[4:5] op_sel:[0,0,1] op_sel_hi:[0,1,0]
	v_mov_b32_e32 v7, v3
	v_pk_add_f32 v[2:3], v[6:7], v[10:11]
	global_store_dwordx2 v[0:1], v[2:3], off
.LBB61_12:
	s_endpgm
	.section	.rodata,"a",@progbits
	.p2align	6, 0x0
	.amdhsa_kernel _ZL19rocblas_geam_deviceILi16ELi16E19rocblas_complex_numIfEPKPKS1_PKPS1_Ev18rocblas_operation_S9_iiT1_T2_lllSA_SB_lllT3_llli
		.amdhsa_group_segment_fixed_size 0
		.amdhsa_private_segment_fixed_size 0
		.amdhsa_kernarg_size 132
		.amdhsa_user_sgpr_count 6
		.amdhsa_user_sgpr_private_segment_buffer 1
		.amdhsa_user_sgpr_dispatch_ptr 0
		.amdhsa_user_sgpr_queue_ptr 0
		.amdhsa_user_sgpr_kernarg_segment_ptr 1
		.amdhsa_user_sgpr_dispatch_id 0
		.amdhsa_user_sgpr_flat_scratch_init 0
		.amdhsa_user_sgpr_kernarg_preload_length 0
		.amdhsa_user_sgpr_kernarg_preload_offset 0
		.amdhsa_user_sgpr_private_segment_size 0
		.amdhsa_uses_dynamic_stack 0
		.amdhsa_system_sgpr_private_segment_wavefront_offset 0
		.amdhsa_system_sgpr_workgroup_id_x 1
		.amdhsa_system_sgpr_workgroup_id_y 0
		.amdhsa_system_sgpr_workgroup_id_z 1
		.amdhsa_system_sgpr_workgroup_info 0
		.amdhsa_system_vgpr_workitem_id 1
		.amdhsa_next_free_vgpr 12
		.amdhsa_next_free_sgpr 28
		.amdhsa_accum_offset 12
		.amdhsa_reserve_vcc 1
		.amdhsa_reserve_flat_scratch 0
		.amdhsa_float_round_mode_32 0
		.amdhsa_float_round_mode_16_64 0
		.amdhsa_float_denorm_mode_32 3
		.amdhsa_float_denorm_mode_16_64 3
		.amdhsa_dx10_clamp 1
		.amdhsa_ieee_mode 1
		.amdhsa_fp16_overflow 0
		.amdhsa_tg_split 0
		.amdhsa_exception_fp_ieee_invalid_op 0
		.amdhsa_exception_fp_denorm_src 0
		.amdhsa_exception_fp_ieee_div_zero 0
		.amdhsa_exception_fp_ieee_overflow 0
		.amdhsa_exception_fp_ieee_underflow 0
		.amdhsa_exception_fp_ieee_inexact 0
		.amdhsa_exception_int_div_zero 0
	.end_amdhsa_kernel
	.section	.text._ZL19rocblas_geam_deviceILi16ELi16E19rocblas_complex_numIfEPKPKS1_PKPS1_Ev18rocblas_operation_S9_iiT1_T2_lllSA_SB_lllT3_llli,"axG",@progbits,_ZL19rocblas_geam_deviceILi16ELi16E19rocblas_complex_numIfEPKPKS1_PKPS1_Ev18rocblas_operation_S9_iiT1_T2_lllSA_SB_lllT3_llli,comdat
.Lfunc_end61:
	.size	_ZL19rocblas_geam_deviceILi16ELi16E19rocblas_complex_numIfEPKPKS1_PKPS1_Ev18rocblas_operation_S9_iiT1_T2_lllSA_SB_lllT3_llli, .Lfunc_end61-_ZL19rocblas_geam_deviceILi16ELi16E19rocblas_complex_numIfEPKPKS1_PKPS1_Ev18rocblas_operation_S9_iiT1_T2_lllSA_SB_lllT3_llli
                                        ; -- End function
	.section	.AMDGPU.csdata,"",@progbits
; Kernel info:
; codeLenInByte = 836
; NumSgprs: 32
; NumVgprs: 12
; NumAgprs: 0
; TotalNumVgprs: 12
; ScratchSize: 0
; MemoryBound: 0
; FloatMode: 240
; IeeeMode: 1
; LDSByteSize: 0 bytes/workgroup (compile time only)
; SGPRBlocks: 3
; VGPRBlocks: 1
; NumSGPRsForWavesPerEU: 32
; NumVGPRsForWavesPerEU: 12
; AccumOffset: 12
; Occupancy: 8
; WaveLimiterHint : 1
; COMPUTE_PGM_RSRC2:SCRATCH_EN: 0
; COMPUTE_PGM_RSRC2:USER_SGPR: 6
; COMPUTE_PGM_RSRC2:TRAP_HANDLER: 0
; COMPUTE_PGM_RSRC2:TGID_X_EN: 1
; COMPUTE_PGM_RSRC2:TGID_Y_EN: 0
; COMPUTE_PGM_RSRC2:TGID_Z_EN: 1
; COMPUTE_PGM_RSRC2:TIDIG_COMP_CNT: 1
; COMPUTE_PGM_RSRC3_GFX90A:ACCUM_OFFSET: 2
; COMPUTE_PGM_RSRC3_GFX90A:TG_SPLIT: 0
	.section	.text._ZL19rocblas_geam_deviceILi16ELi16EPK19rocblas_complex_numIfEPKS3_PKPS1_Ev18rocblas_operation_S9_iiT1_T2_lllSA_SB_lllT3_llli,"axG",@progbits,_ZL19rocblas_geam_deviceILi16ELi16EPK19rocblas_complex_numIfEPKS3_PKPS1_Ev18rocblas_operation_S9_iiT1_T2_lllSA_SB_lllT3_llli,comdat
	.globl	_ZL19rocblas_geam_deviceILi16ELi16EPK19rocblas_complex_numIfEPKS3_PKPS1_Ev18rocblas_operation_S9_iiT1_T2_lllSA_SB_lllT3_llli ; -- Begin function _ZL19rocblas_geam_deviceILi16ELi16EPK19rocblas_complex_numIfEPKS3_PKPS1_Ev18rocblas_operation_S9_iiT1_T2_lllSA_SB_lllT3_llli
	.p2align	8
	.type	_ZL19rocblas_geam_deviceILi16ELi16EPK19rocblas_complex_numIfEPKS3_PKPS1_Ev18rocblas_operation_S9_iiT1_T2_lllSA_SB_lllT3_llli,@function
_ZL19rocblas_geam_deviceILi16ELi16EPK19rocblas_complex_numIfEPKS3_PKPS1_Ev18rocblas_operation_S9_iiT1_T2_lllSA_SB_lllT3_llli: ; @_ZL19rocblas_geam_deviceILi16ELi16EPK19rocblas_complex_numIfEPKS3_PKPS1_Ev18rocblas_operation_S9_iiT1_T2_lllSA_SB_lllT3_llli
; %bb.0:
	s_load_dwordx4 s[24:27], s[4:5], 0x0
	s_mov_b32 s28, s7
	v_and_b32_e32 v2, 0x3ff, v0
	v_bfe_u32 v0, v0, 10, 10
	s_waitcnt lgkmcnt(0)
	s_add_i32 s0, s26, -1
	s_ashr_i32 s1, s0, 31
	s_lshr_b32 s1, s1, 28
	s_add_i32 s0, s0, s1
	s_ashr_i32 s0, s0, 4
	s_add_i32 s1, s0, 1
	v_cvt_f32_u32_e32 v1, s1
	s_not_b32 s0, s0
	v_rcp_iflag_f32_e32 v1, v1
	v_mul_f32_e32 v1, 0x4f7ffffe, v1
	v_cvt_u32_f32_e32 v1, v1
	v_readfirstlane_b32 s2, v1
	s_mul_i32 s0, s0, s2
	s_mul_hi_u32 s0, s2, s0
	s_add_i32 s2, s2, s0
	s_mul_hi_u32 s0, s6, s2
	s_mul_i32 s2, s0, s1
	s_sub_i32 s2, s6, s2
	s_add_i32 s3, s0, 1
	s_sub_i32 s7, s2, s1
	s_cmp_ge_u32 s2, s1
	s_cselect_b32 s0, s3, s0
	s_cselect_b32 s2, s7, s2
	s_add_i32 s3, s0, 1
	s_cmp_ge_u32 s2, s1
	s_cselect_b32 s0, s3, s0
	s_mul_i32 s1, s0, s1
	v_lshl_add_u32 v6, s0, 4, v0
	s_sub_i32 s0, s6, s1
	v_lshl_add_u32 v0, s0, 4, v2
	v_cmp_gt_i32_e32 vcc, s26, v0
	v_cmp_gt_i32_e64 s[0:1], s27, v6
	s_and_b64 s[0:1], vcc, s[0:1]
	s_and_saveexec_b64 s[2:3], s[0:1]
	s_cbranch_execz .LBB62_12
; %bb.1:
	s_load_dwordx8 s[16:23], s[4:5], 0x10
	s_load_dwordx8 s[8:15], s[4:5], 0x38
	s_mov_b32 s29, 0
	s_waitcnt lgkmcnt(0)
	s_load_dwordx2 s[6:7], s[16:17], 0x0
	s_load_dwordx2 s[26:27], s[8:9], 0x0
	s_waitcnt lgkmcnt(0)
	s_or_b32 s0, s6, s7
	s_bitset0_b32 s0, 31
	s_cmp_lg_u32 s0, 0
	s_cselect_b64 s[8:9], -1, 0
	s_and_b64 vcc, exec, s[8:9]
	s_cbranch_vccnz .LBB62_3
; %bb.2:
	s_mov_b64 s[16:17], 0
	s_cbranch_execz .LBB62_4
	s_branch .LBB62_5
.LBB62_3:
                                        ; implicit-def: $sgpr16_sgpr17
.LBB62_4:
	s_lshl_b64 s[0:1], s[28:29], 3
	s_add_u32 s0, s18, s0
	s_addc_u32 s1, s19, s1
	s_load_dwordx2 s[0:1], s[0:1], 0x0
	s_lshl_b64 s[2:3], s[20:21], 3
	s_waitcnt lgkmcnt(0)
	s_add_u32 s16, s0, s2
	s_addc_u32 s17, s1, s3
.LBB62_5:
	s_or_b32 s0, s26, s27
	s_bitset0_b32 s0, 31
	s_cmp_lg_u32 s0, 0
	s_cselect_b64 s[20:21], -1, 0
	s_cmp_eq_u32 s0, 0
	s_mov_b64 s[18:19], 0
	s_cbranch_scc1 .LBB62_7
; %bb.6:
	s_lshl_b64 s[0:1], s[28:29], 3
	s_add_u32 s0, s10, s0
	s_addc_u32 s1, s11, s1
	s_load_dwordx2 s[0:1], s[0:1], 0x0
	s_lshl_b64 s[2:3], s[12:13], 3
	s_waitcnt lgkmcnt(0)
	s_add_u32 s18, s0, s2
	s_addc_u32 s19, s1, s3
.LBB62_7:
	s_load_dwordx4 s[0:3], s[4:5], 0x60
	s_load_dwordx2 s[10:11], s[4:5], 0x70
	s_lshl_b64 s[4:5], s[28:29], 3
	v_ashrrev_i32_e32 v1, 31, v0
	v_ashrrev_i32_e32 v7, 31, v6
	s_waitcnt lgkmcnt(0)
	s_add_u32 s0, s0, s4
	s_addc_u32 s1, s1, s5
	s_load_dwordx2 s[0:1], s[0:1], 0x0
	s_andn2_b64 vcc, exec, s[8:9]
	v_mov_b32_e32 v4, 0
	v_mov_b32_e32 v2, 0
	;; [unrolled: 1-line block ×3, first 2 shown]
	s_cbranch_vccnz .LBB62_9
; %bb.8:
	s_cmpk_eq_i32 s24, 0x6f
	s_cselect_b64 vcc, -1, 0
	v_cndmask_b32_e32 v5, v1, v7, vcc
	v_cndmask_b32_e32 v8, v0, v6, vcc
	;; [unrolled: 1-line block ×4, first 2 shown]
	v_mad_u64_u32 v[2:3], s[4:5], v8, s22, v[2:3]
	v_mul_lo_u32 v8, v8, s23
	v_mul_lo_u32 v5, v5, s22
	v_add3_u32 v3, v5, v3, v8
	v_lshlrev_b64 v[2:3], 3, v[2:3]
	v_mov_b32_e32 v5, s17
	v_add_co_u32_e32 v2, vcc, s16, v2
	v_addc_co_u32_e32 v3, vcc, v5, v3, vcc
	flat_load_dwordx2 v[2:3], v[2:3]
.LBB62_9:
	s_andn2_b64 vcc, exec, s[20:21]
	v_mov_b32_e32 v5, 0
	s_cbranch_vccnz .LBB62_11
; %bb.10:
	s_cmpk_eq_i32 s25, 0x6f
	s_cselect_b64 vcc, -1, 0
	v_cndmask_b32_e32 v8, v1, v7, vcc
	v_cndmask_b32_e32 v9, v0, v6, vcc
	;; [unrolled: 1-line block ×4, first 2 shown]
	v_mad_u64_u32 v[4:5], s[4:5], v9, s14, v[4:5]
	v_mul_lo_u32 v9, v9, s15
	v_mul_lo_u32 v8, v8, s14
	v_add3_u32 v5, v8, v5, v9
	v_lshlrev_b64 v[4:5], 3, v[4:5]
	v_mov_b32_e32 v8, s19
	v_add_co_u32_e32 v4, vcc, s18, v4
	v_addc_co_u32_e32 v5, vcc, v8, v5, vcc
	flat_load_dwordx2 v[4:5], v[4:5]
.LBB62_11:
	s_lshl_b64 s[2:3], s[2:3], 3
	s_waitcnt lgkmcnt(0)
	s_add_u32 s2, s0, s2
	s_addc_u32 s3, s1, s3
	v_mul_lo_u32 v8, v7, s10
	v_mul_lo_u32 v9, v6, s11
	v_mad_u64_u32 v[6:7], s[0:1], v6, s10, 0
	s_cmpk_eq_i32 s24, 0x71
	v_add3_u32 v7, v7, v9, v8
	s_cselect_b64 s[0:1], -1, 0
	s_cmpk_eq_i32 s25, 0x71
	s_waitcnt vmcnt(0)
	v_cndmask_b32_e64 v8, v3, -v3, s[0:1]
	s_cselect_b64 s[0:1], -1, 0
	v_lshlrev_b64 v[6:7], 3, v[6:7]
	v_cndmask_b32_e64 v10, v5, -v5, s[0:1]
	v_mov_b32_e32 v3, s3
	v_add_co_u32_e32 v5, vcc, s2, v6
	v_addc_co_u32_e32 v3, vcc, v3, v7, vcc
	v_lshlrev_b64 v[0:1], 3, v[0:1]
	v_pk_mul_f32 v[6:7], v[10:11], s[26:27] op_sel_hi:[0,1]
	v_add_co_u32_e32 v0, vcc, v5, v0
	v_pk_fma_f32 v[10:11], v[4:5], s[26:27], v[6:7] op_sel:[0,0,1] op_sel_hi:[1,1,0] neg_lo:[0,0,1] neg_hi:[0,0,1]
	v_pk_fma_f32 v[4:5], v[4:5], s[26:27], v[6:7] op_sel:[0,0,1] op_sel_hi:[0,1,0]
	v_mov_b32_e32 v11, v5
	v_pk_mul_f32 v[4:5], v[8:9], s[6:7] op_sel_hi:[0,1]
	v_addc_co_u32_e32 v1, vcc, v3, v1, vcc
	v_pk_fma_f32 v[6:7], v[2:3], s[6:7], v[4:5] op_sel:[0,0,1] op_sel_hi:[1,1,0] neg_lo:[0,0,1] neg_hi:[0,0,1]
	v_pk_fma_f32 v[2:3], v[2:3], s[6:7], v[4:5] op_sel:[0,0,1] op_sel_hi:[0,1,0]
	v_mov_b32_e32 v7, v3
	v_pk_add_f32 v[2:3], v[6:7], v[10:11]
	global_store_dwordx2 v[0:1], v[2:3], off
.LBB62_12:
	s_endpgm
	.section	.rodata,"a",@progbits
	.p2align	6, 0x0
	.amdhsa_kernel _ZL19rocblas_geam_deviceILi16ELi16EPK19rocblas_complex_numIfEPKS3_PKPS1_Ev18rocblas_operation_S9_iiT1_T2_lllSA_SB_lllT3_llli
		.amdhsa_group_segment_fixed_size 0
		.amdhsa_private_segment_fixed_size 0
		.amdhsa_kernarg_size 132
		.amdhsa_user_sgpr_count 6
		.amdhsa_user_sgpr_private_segment_buffer 1
		.amdhsa_user_sgpr_dispatch_ptr 0
		.amdhsa_user_sgpr_queue_ptr 0
		.amdhsa_user_sgpr_kernarg_segment_ptr 1
		.amdhsa_user_sgpr_dispatch_id 0
		.amdhsa_user_sgpr_flat_scratch_init 0
		.amdhsa_user_sgpr_kernarg_preload_length 0
		.amdhsa_user_sgpr_kernarg_preload_offset 0
		.amdhsa_user_sgpr_private_segment_size 0
		.amdhsa_uses_dynamic_stack 0
		.amdhsa_system_sgpr_private_segment_wavefront_offset 0
		.amdhsa_system_sgpr_workgroup_id_x 1
		.amdhsa_system_sgpr_workgroup_id_y 0
		.amdhsa_system_sgpr_workgroup_id_z 1
		.amdhsa_system_sgpr_workgroup_info 0
		.amdhsa_system_vgpr_workitem_id 1
		.amdhsa_next_free_vgpr 12
		.amdhsa_next_free_sgpr 30
		.amdhsa_accum_offset 12
		.amdhsa_reserve_vcc 1
		.amdhsa_reserve_flat_scratch 0
		.amdhsa_float_round_mode_32 0
		.amdhsa_float_round_mode_16_64 0
		.amdhsa_float_denorm_mode_32 3
		.amdhsa_float_denorm_mode_16_64 3
		.amdhsa_dx10_clamp 1
		.amdhsa_ieee_mode 1
		.amdhsa_fp16_overflow 0
		.amdhsa_tg_split 0
		.amdhsa_exception_fp_ieee_invalid_op 0
		.amdhsa_exception_fp_denorm_src 0
		.amdhsa_exception_fp_ieee_div_zero 0
		.amdhsa_exception_fp_ieee_overflow 0
		.amdhsa_exception_fp_ieee_underflow 0
		.amdhsa_exception_fp_ieee_inexact 0
		.amdhsa_exception_int_div_zero 0
	.end_amdhsa_kernel
	.section	.text._ZL19rocblas_geam_deviceILi16ELi16EPK19rocblas_complex_numIfEPKS3_PKPS1_Ev18rocblas_operation_S9_iiT1_T2_lllSA_SB_lllT3_llli,"axG",@progbits,_ZL19rocblas_geam_deviceILi16ELi16EPK19rocblas_complex_numIfEPKS3_PKPS1_Ev18rocblas_operation_S9_iiT1_T2_lllSA_SB_lllT3_llli,comdat
.Lfunc_end62:
	.size	_ZL19rocblas_geam_deviceILi16ELi16EPK19rocblas_complex_numIfEPKS3_PKPS1_Ev18rocblas_operation_S9_iiT1_T2_lllSA_SB_lllT3_llli, .Lfunc_end62-_ZL19rocblas_geam_deviceILi16ELi16EPK19rocblas_complex_numIfEPKS3_PKPS1_Ev18rocblas_operation_S9_iiT1_T2_lllSA_SB_lllT3_llli
                                        ; -- End function
	.section	.AMDGPU.csdata,"",@progbits
; Kernel info:
; codeLenInByte = 812
; NumSgprs: 34
; NumVgprs: 12
; NumAgprs: 0
; TotalNumVgprs: 12
; ScratchSize: 0
; MemoryBound: 0
; FloatMode: 240
; IeeeMode: 1
; LDSByteSize: 0 bytes/workgroup (compile time only)
; SGPRBlocks: 4
; VGPRBlocks: 1
; NumSGPRsForWavesPerEU: 34
; NumVGPRsForWavesPerEU: 12
; AccumOffset: 12
; Occupancy: 8
; WaveLimiterHint : 1
; COMPUTE_PGM_RSRC2:SCRATCH_EN: 0
; COMPUTE_PGM_RSRC2:USER_SGPR: 6
; COMPUTE_PGM_RSRC2:TRAP_HANDLER: 0
; COMPUTE_PGM_RSRC2:TGID_X_EN: 1
; COMPUTE_PGM_RSRC2:TGID_Y_EN: 0
; COMPUTE_PGM_RSRC2:TGID_Z_EN: 1
; COMPUTE_PGM_RSRC2:TIDIG_COMP_CNT: 1
; COMPUTE_PGM_RSRC3_GFX90A:ACCUM_OFFSET: 2
; COMPUTE_PGM_RSRC3_GFX90A:TG_SPLIT: 0
	.section	.text._ZL31rocblas_geam_zero_matrix_deviceILi16ELi16EPKP19rocblas_complex_numIdEEviiT1_llli,"axG",@progbits,_ZL31rocblas_geam_zero_matrix_deviceILi16ELi16EPKP19rocblas_complex_numIdEEviiT1_llli,comdat
	.globl	_ZL31rocblas_geam_zero_matrix_deviceILi16ELi16EPKP19rocblas_complex_numIdEEviiT1_llli ; -- Begin function _ZL31rocblas_geam_zero_matrix_deviceILi16ELi16EPKP19rocblas_complex_numIdEEviiT1_llli
	.p2align	8
	.type	_ZL31rocblas_geam_zero_matrix_deviceILi16ELi16EPKP19rocblas_complex_numIdEEviiT1_llli,@function
_ZL31rocblas_geam_zero_matrix_deviceILi16ELi16EPKP19rocblas_complex_numIdEEviiT1_llli: ; @_ZL31rocblas_geam_zero_matrix_deviceILi16ELi16EPKP19rocblas_complex_numIdEEviiT1_llli
; %bb.0:
	s_load_dwordx2 s[0:1], s[4:5], 0x0
	s_mov_b32 s2, s7
	v_and_b32_e32 v3, 0x3ff, v0
	v_bfe_u32 v0, v0, 10, 10
	s_waitcnt lgkmcnt(0)
	s_add_i32 s3, s0, -1
	s_ashr_i32 s7, s3, 31
	s_lshr_b32 s7, s7, 28
	s_add_i32 s3, s3, s7
	s_ashr_i32 s3, s3, 4
	s_add_i32 s7, s3, 1
	v_cvt_f32_u32_e32 v1, s7
	s_not_b32 s3, s3
	v_rcp_iflag_f32_e32 v1, v1
	v_mul_f32_e32 v1, 0x4f7ffffe, v1
	v_cvt_u32_f32_e32 v1, v1
	v_readfirstlane_b32 s8, v1
	s_mul_i32 s3, s3, s8
	s_mul_hi_u32 s3, s8, s3
	s_add_i32 s8, s8, s3
	s_mul_hi_u32 s3, s6, s8
	s_mul_i32 s8, s3, s7
	s_sub_i32 s8, s6, s8
	s_add_i32 s9, s3, 1
	s_sub_i32 s10, s8, s7
	s_cmp_ge_u32 s8, s7
	s_cselect_b32 s3, s9, s3
	s_cselect_b32 s8, s10, s8
	s_add_i32 s9, s3, 1
	s_cmp_ge_u32 s8, s7
	s_cselect_b32 s3, s9, s3
	s_mul_i32 s7, s3, s7
	v_lshl_add_u32 v2, s3, 4, v0
	s_sub_i32 s3, s6, s7
	v_lshl_add_u32 v0, s3, 4, v3
	v_cmp_gt_i32_e32 vcc, s0, v0
	v_cmp_gt_i32_e64 s[0:1], s1, v2
	s_and_b64 s[0:1], vcc, s[0:1]
	s_and_saveexec_b64 s[6:7], s[0:1]
	s_cbranch_execz .LBB63_2
; %bb.1:
	s_load_dwordx4 s[8:11], s[4:5], 0x8
	s_load_dwordx2 s[0:1], s[4:5], 0x18
	s_mov_b32 s3, 0
	s_lshl_b64 s[2:3], s[2:3], 3
	v_ashrrev_i32_e32 v3, 31, v2
	s_waitcnt lgkmcnt(0)
	s_add_u32 s2, s8, s2
	s_addc_u32 s3, s9, s3
	s_load_dwordx2 s[2:3], s[2:3], 0x0
	v_mul_lo_u32 v4, v2, s1
	v_mul_lo_u32 v5, v3, s0
	s_lshl_b64 s[4:5], s[10:11], 4
	v_mad_u64_u32 v[2:3], s[0:1], v2, s0, 0
	s_waitcnt lgkmcnt(0)
	s_add_u32 s2, s2, s4
	v_add3_u32 v3, v3, v4, v5
	s_addc_u32 s3, s3, s5
	v_lshlrev_b64 v[2:3], 4, v[2:3]
	v_ashrrev_i32_e32 v1, 31, v0
	v_mov_b32_e32 v4, s3
	v_add_co_u32_e32 v2, vcc, s2, v2
	v_addc_co_u32_e32 v3, vcc, v4, v3, vcc
	v_lshlrev_b64 v[0:1], 4, v[0:1]
	v_add_co_u32_e32 v4, vcc, v2, v0
	v_mov_b32_e32 v0, 0
	v_addc_co_u32_e32 v5, vcc, v3, v1, vcc
	v_mov_b32_e32 v1, v0
	v_mov_b32_e32 v2, v0
	;; [unrolled: 1-line block ×3, first 2 shown]
	global_store_dwordx4 v[4:5], v[0:3], off
.LBB63_2:
	s_endpgm
	.section	.rodata,"a",@progbits
	.p2align	6, 0x0
	.amdhsa_kernel _ZL31rocblas_geam_zero_matrix_deviceILi16ELi16EPKP19rocblas_complex_numIdEEviiT1_llli
		.amdhsa_group_segment_fixed_size 0
		.amdhsa_private_segment_fixed_size 0
		.amdhsa_kernarg_size 44
		.amdhsa_user_sgpr_count 6
		.amdhsa_user_sgpr_private_segment_buffer 1
		.amdhsa_user_sgpr_dispatch_ptr 0
		.amdhsa_user_sgpr_queue_ptr 0
		.amdhsa_user_sgpr_kernarg_segment_ptr 1
		.amdhsa_user_sgpr_dispatch_id 0
		.amdhsa_user_sgpr_flat_scratch_init 0
		.amdhsa_user_sgpr_kernarg_preload_length 0
		.amdhsa_user_sgpr_kernarg_preload_offset 0
		.amdhsa_user_sgpr_private_segment_size 0
		.amdhsa_uses_dynamic_stack 0
		.amdhsa_system_sgpr_private_segment_wavefront_offset 0
		.amdhsa_system_sgpr_workgroup_id_x 1
		.amdhsa_system_sgpr_workgroup_id_y 0
		.amdhsa_system_sgpr_workgroup_id_z 1
		.amdhsa_system_sgpr_workgroup_info 0
		.amdhsa_system_vgpr_workitem_id 1
		.amdhsa_next_free_vgpr 6
		.amdhsa_next_free_sgpr 12
		.amdhsa_accum_offset 8
		.amdhsa_reserve_vcc 1
		.amdhsa_reserve_flat_scratch 0
		.amdhsa_float_round_mode_32 0
		.amdhsa_float_round_mode_16_64 0
		.amdhsa_float_denorm_mode_32 3
		.amdhsa_float_denorm_mode_16_64 3
		.amdhsa_dx10_clamp 1
		.amdhsa_ieee_mode 1
		.amdhsa_fp16_overflow 0
		.amdhsa_tg_split 0
		.amdhsa_exception_fp_ieee_invalid_op 0
		.amdhsa_exception_fp_denorm_src 0
		.amdhsa_exception_fp_ieee_div_zero 0
		.amdhsa_exception_fp_ieee_overflow 0
		.amdhsa_exception_fp_ieee_underflow 0
		.amdhsa_exception_fp_ieee_inexact 0
		.amdhsa_exception_int_div_zero 0
	.end_amdhsa_kernel
	.section	.text._ZL31rocblas_geam_zero_matrix_deviceILi16ELi16EPKP19rocblas_complex_numIdEEviiT1_llli,"axG",@progbits,_ZL31rocblas_geam_zero_matrix_deviceILi16ELi16EPKP19rocblas_complex_numIdEEviiT1_llli,comdat
.Lfunc_end63:
	.size	_ZL31rocblas_geam_zero_matrix_deviceILi16ELi16EPKP19rocblas_complex_numIdEEviiT1_llli, .Lfunc_end63-_ZL31rocblas_geam_zero_matrix_deviceILi16ELi16EPKP19rocblas_complex_numIdEEviiT1_llli
                                        ; -- End function
	.section	.AMDGPU.csdata,"",@progbits
; Kernel info:
; codeLenInByte = 352
; NumSgprs: 16
; NumVgprs: 6
; NumAgprs: 0
; TotalNumVgprs: 6
; ScratchSize: 0
; MemoryBound: 0
; FloatMode: 240
; IeeeMode: 1
; LDSByteSize: 0 bytes/workgroup (compile time only)
; SGPRBlocks: 1
; VGPRBlocks: 0
; NumSGPRsForWavesPerEU: 16
; NumVGPRsForWavesPerEU: 6
; AccumOffset: 8
; Occupancy: 8
; WaveLimiterHint : 1
; COMPUTE_PGM_RSRC2:SCRATCH_EN: 0
; COMPUTE_PGM_RSRC2:USER_SGPR: 6
; COMPUTE_PGM_RSRC2:TRAP_HANDLER: 0
; COMPUTE_PGM_RSRC2:TGID_X_EN: 1
; COMPUTE_PGM_RSRC2:TGID_Y_EN: 0
; COMPUTE_PGM_RSRC2:TGID_Z_EN: 1
; COMPUTE_PGM_RSRC2:TIDIG_COMP_CNT: 1
; COMPUTE_PGM_RSRC3_GFX90A:ACCUM_OFFSET: 1
; COMPUTE_PGM_RSRC3_GFX90A:TG_SPLIT: 0
	.section	.text._ZL27rocblas_geam_inplace_deviceILi16ELi16E19rocblas_complex_numIdEPKPKS1_PKPS1_Ev18rocblas_operation_iiT1_SA_T2_lllT3_llli,"axG",@progbits,_ZL27rocblas_geam_inplace_deviceILi16ELi16E19rocblas_complex_numIdEPKPKS1_PKPS1_Ev18rocblas_operation_iiT1_SA_T2_lllT3_llli,comdat
	.globl	_ZL27rocblas_geam_inplace_deviceILi16ELi16E19rocblas_complex_numIdEPKPKS1_PKPS1_Ev18rocblas_operation_iiT1_SA_T2_lllT3_llli ; -- Begin function _ZL27rocblas_geam_inplace_deviceILi16ELi16E19rocblas_complex_numIdEPKPKS1_PKPS1_Ev18rocblas_operation_iiT1_SA_T2_lllT3_llli
	.p2align	8
	.type	_ZL27rocblas_geam_inplace_deviceILi16ELi16E19rocblas_complex_numIdEPKPKS1_PKPS1_Ev18rocblas_operation_iiT1_SA_T2_lllT3_llli,@function
_ZL27rocblas_geam_inplace_deviceILi16ELi16E19rocblas_complex_numIdEPKPKS1_PKPS1_Ev18rocblas_operation_iiT1_SA_T2_lllT3_llli: ; @_ZL27rocblas_geam_inplace_deviceILi16ELi16E19rocblas_complex_numIdEPKPKS1_PKPS1_Ev18rocblas_operation_iiT1_SA_T2_lllT3_llli
; %bb.0:
	s_load_dwordx4 s[16:19], s[4:5], 0x0
	s_mov_b32 s2, s7
	v_and_b32_e32 v2, 0x3ff, v0
	v_bfe_u32 v0, v0, 10, 10
	s_waitcnt lgkmcnt(0)
	s_add_i32 s0, s17, -1
	s_ashr_i32 s1, s0, 31
	s_lshr_b32 s1, s1, 28
	s_add_i32 s0, s0, s1
	s_ashr_i32 s0, s0, 4
	s_add_i32 s1, s0, 1
	v_cvt_f32_u32_e32 v1, s1
	s_not_b32 s0, s0
	v_rcp_iflag_f32_e32 v1, v1
	v_mul_f32_e32 v1, 0x4f7ffffe, v1
	v_cvt_u32_f32_e32 v1, v1
	v_readfirstlane_b32 s3, v1
	s_mul_i32 s0, s0, s3
	s_mul_hi_u32 s0, s3, s0
	s_add_i32 s3, s3, s0
	s_mul_hi_u32 s0, s6, s3
	s_mul_i32 s3, s0, s1
	s_sub_i32 s3, s6, s3
	s_add_i32 s7, s0, 1
	s_sub_i32 s8, s3, s1
	s_cmp_ge_u32 s3, s1
	s_cselect_b32 s0, s7, s0
	s_cselect_b32 s3, s8, s3
	s_add_i32 s7, s0, 1
	s_cmp_ge_u32 s3, s1
	s_cselect_b32 s0, s7, s0
	s_mul_i32 s1, s0, s1
	v_lshl_add_u32 v0, s0, 4, v0
	s_sub_i32 s0, s6, s1
	v_lshl_add_u32 v2, s0, 4, v2
	v_cmp_gt_i32_e32 vcc, s17, v2
	v_cmp_gt_i32_e64 s[0:1], s18, v0
	s_and_b64 s[0:1], vcc, s[0:1]
	s_and_saveexec_b64 s[6:7], s[0:1]
	s_cbranch_execz .LBB64_11
; %bb.1:
	s_load_dwordx4 s[20:23], s[4:5], 0x50
	s_load_dwordx2 s[18:19], s[4:5], 0x60
	s_load_dwordx8 s[8:15], s[4:5], 0x10
	s_mov_b32 s3, 0
	s_lshl_b64 s[0:1], s[2:3], 3
	s_waitcnt lgkmcnt(0)
	s_add_u32 s2, s20, s0
	s_addc_u32 s3, s21, s1
	s_load_dwordx2 s[2:3], s[2:3], 0x0
	s_lshl_b64 s[6:7], s[22:23], 4
	v_ashrrev_i32_e32 v3, 31, v2
	v_ashrrev_i32_e32 v1, 31, v0
	v_mul_lo_u32 v6, v0, s19
	s_waitcnt lgkmcnt(0)
	s_add_u32 s6, s2, s6
	s_addc_u32 s7, s3, s7
	v_mad_u64_u32 v[4:5], s[2:3], v0, s18, v[2:3]
	v_mul_lo_u32 v7, v1, s18
	v_cmp_eq_f64_e64 s[2:3], s[12:13], 0
	v_cmp_eq_f64_e64 s[18:19], s[14:15], 0
	v_add3_u32 v5, v7, v5, v6
	s_and_b64 s[18:19], s[2:3], s[18:19]
	s_mov_b64 s[2:3], -1
	s_andn2_b64 vcc, exec, s[18:19]
	v_lshlrev_b64 v[4:5], 4, v[4:5]
	s_cbranch_vccz .LBB64_7
; %bb.2:
	s_load_dwordx4 s[20:23], s[4:5], 0x30
	s_load_dwordx2 s[2:3], s[4:5], 0x40
	s_waitcnt lgkmcnt(0)
	s_add_u32 s0, s20, s0
	s_addc_u32 s1, s21, s1
	s_load_dwordx2 s[0:1], s[0:1], 0x0
	s_lshl_b64 s[4:5], s[22:23], 4
	s_waitcnt lgkmcnt(0)
	s_add_u32 s4, s0, s4
	s_addc_u32 s5, s1, s5
	s_cmpk_eq_i32 s16, 0x6f
	s_cselect_b64 vcc, -1, 0
	v_cndmask_b32_e32 v6, v2, v0, vcc
	v_cndmask_b32_e32 v7, v3, v1, vcc
	;; [unrolled: 1-line block ×4, first 2 shown]
	v_mul_lo_u32 v8, v6, s3
	v_mad_u64_u32 v[2:3], s[0:1], v6, s2, 0
	v_mul_lo_u32 v6, v7, s2
	v_add3_u32 v3, v3, v8, v6
	v_lshlrev_b64 v[2:3], 4, v[2:3]
	v_mov_b32_e32 v6, s5
	v_add_co_u32_e32 v2, vcc, s4, v2
	v_addc_co_u32_e32 v3, vcc, v6, v3, vcc
	v_lshlrev_b64 v[0:1], 4, v[0:1]
	v_add_co_u32_e32 v0, vcc, v2, v0
	v_addc_co_u32_e32 v1, vcc, v3, v1, vcc
	global_load_dwordx4 v[8:11], v[0:1], off
	v_mov_b32_e32 v0, s7
	v_add_co_u32_e32 v6, vcc, s6, v4
	v_addc_co_u32_e32 v7, vcc, v0, v5, vcc
	s_cmpk_eq_i32 s16, 0x71
	s_cselect_b64 vcc, -1, 0
	v_cmp_eq_f64_e64 s[0:1], s[8:9], 0
	v_cmp_eq_f64_e64 s[2:3], s[10:11], 0
	s_and_b64 s[0:1], s[0:1], s[2:3]
	s_waitcnt vmcnt(0)
	v_xor_b32_e32 v0, 0x80000000, v11
	v_cndmask_b32_e32 v11, v11, v0, vcc
	v_mul_f64 v[0:1], s[14:15], v[10:11]
	v_mul_f64 v[2:3], s[12:13], v[10:11]
	s_andn2_b64 vcc, exec, s[0:1]
	v_fma_f64 v[0:1], s[12:13], v[8:9], -v[0:1]
	v_fmac_f64_e32 v[2:3], s[14:15], v[8:9]
	s_mov_b64 s[0:1], -1
	s_cbranch_vccz .LBB64_4
; %bb.3:
	global_load_dwordx4 v[8:11], v[6:7], off
	s_mov_b64 s[0:1], 0
	s_waitcnt vmcnt(0)
	v_mul_f64 v[12:13], s[10:11], v[10:11]
	v_mul_f64 v[10:11], s[8:9], v[10:11]
	v_fma_f64 v[12:13], s[8:9], v[8:9], -v[12:13]
	v_fmac_f64_e32 v[10:11], s[10:11], v[8:9]
	v_add_f64 v[8:9], v[0:1], v[12:13]
	v_add_f64 v[10:11], v[2:3], v[10:11]
	global_store_dwordx4 v[6:7], v[8:11], off
.LBB64_4:
	s_andn2_b64 vcc, exec, s[0:1]
	s_cbranch_vccnz .LBB64_6
; %bb.5:
	global_store_dwordx4 v[6:7], v[0:3], off
.LBB64_6:
	s_mov_b64 s[2:3], 0
.LBB64_7:
	s_andn2_b64 vcc, exec, s[2:3]
	s_cbranch_vccnz .LBB64_11
; %bb.8:
	v_cmp_neq_f64_e64 s[0:1], s[8:9], 0
	v_cmp_neq_f64_e64 s[2:3], s[10:11], 0
	v_pk_mov_b32 v[0:1], 0, 0
	s_or_b64 s[0:1], s[0:1], s[2:3]
	s_andn2_b64 vcc, exec, s[0:1]
	v_pk_mov_b32 v[2:3], v[0:1], v[0:1] op_sel:[0,1]
	s_cbranch_vccnz .LBB64_10
; %bb.9:
	v_mov_b32_e32 v1, s7
	v_add_co_u32_e32 v0, vcc, s6, v4
	v_addc_co_u32_e32 v1, vcc, v1, v5, vcc
	global_load_dwordx4 v[6:9], v[0:1], off
	s_waitcnt vmcnt(0)
	v_mul_f64 v[0:1], s[10:11], v[8:9]
	v_mul_f64 v[2:3], s[8:9], v[8:9]
	v_fma_f64 v[0:1], s[8:9], v[6:7], -v[0:1]
	v_fmac_f64_e32 v[2:3], s[10:11], v[6:7]
.LBB64_10:
	v_mov_b32_e32 v6, s7
	v_add_co_u32_e32 v4, vcc, s6, v4
	v_addc_co_u32_e32 v5, vcc, v6, v5, vcc
	global_store_dwordx4 v[4:5], v[0:3], off
.LBB64_11:
	s_endpgm
	.section	.rodata,"a",@progbits
	.p2align	6, 0x0
	.amdhsa_kernel _ZL27rocblas_geam_inplace_deviceILi16ELi16E19rocblas_complex_numIdEPKPKS1_PKPS1_Ev18rocblas_operation_iiT1_SA_T2_lllT3_llli
		.amdhsa_group_segment_fixed_size 0
		.amdhsa_private_segment_fixed_size 0
		.amdhsa_kernarg_size 116
		.amdhsa_user_sgpr_count 6
		.amdhsa_user_sgpr_private_segment_buffer 1
		.amdhsa_user_sgpr_dispatch_ptr 0
		.amdhsa_user_sgpr_queue_ptr 0
		.amdhsa_user_sgpr_kernarg_segment_ptr 1
		.amdhsa_user_sgpr_dispatch_id 0
		.amdhsa_user_sgpr_flat_scratch_init 0
		.amdhsa_user_sgpr_kernarg_preload_length 0
		.amdhsa_user_sgpr_kernarg_preload_offset 0
		.amdhsa_user_sgpr_private_segment_size 0
		.amdhsa_uses_dynamic_stack 0
		.amdhsa_system_sgpr_private_segment_wavefront_offset 0
		.amdhsa_system_sgpr_workgroup_id_x 1
		.amdhsa_system_sgpr_workgroup_id_y 0
		.amdhsa_system_sgpr_workgroup_id_z 1
		.amdhsa_system_sgpr_workgroup_info 0
		.amdhsa_system_vgpr_workitem_id 1
		.amdhsa_next_free_vgpr 14
		.amdhsa_next_free_sgpr 24
		.amdhsa_accum_offset 16
		.amdhsa_reserve_vcc 1
		.amdhsa_reserve_flat_scratch 0
		.amdhsa_float_round_mode_32 0
		.amdhsa_float_round_mode_16_64 0
		.amdhsa_float_denorm_mode_32 3
		.amdhsa_float_denorm_mode_16_64 3
		.amdhsa_dx10_clamp 1
		.amdhsa_ieee_mode 1
		.amdhsa_fp16_overflow 0
		.amdhsa_tg_split 0
		.amdhsa_exception_fp_ieee_invalid_op 0
		.amdhsa_exception_fp_denorm_src 0
		.amdhsa_exception_fp_ieee_div_zero 0
		.amdhsa_exception_fp_ieee_overflow 0
		.amdhsa_exception_fp_ieee_underflow 0
		.amdhsa_exception_fp_ieee_inexact 0
		.amdhsa_exception_int_div_zero 0
	.end_amdhsa_kernel
	.section	.text._ZL27rocblas_geam_inplace_deviceILi16ELi16E19rocblas_complex_numIdEPKPKS1_PKPS1_Ev18rocblas_operation_iiT1_SA_T2_lllT3_llli,"axG",@progbits,_ZL27rocblas_geam_inplace_deviceILi16ELi16E19rocblas_complex_numIdEPKPKS1_PKPS1_Ev18rocblas_operation_iiT1_SA_T2_lllT3_llli,comdat
.Lfunc_end64:
	.size	_ZL27rocblas_geam_inplace_deviceILi16ELi16E19rocblas_complex_numIdEPKPKS1_PKPS1_Ev18rocblas_operation_iiT1_SA_T2_lllT3_llli, .Lfunc_end64-_ZL27rocblas_geam_inplace_deviceILi16ELi16E19rocblas_complex_numIdEPKPKS1_PKPS1_Ev18rocblas_operation_iiT1_SA_T2_lllT3_llli
                                        ; -- End function
	.section	.AMDGPU.csdata,"",@progbits
; Kernel info:
; codeLenInByte = 800
; NumSgprs: 28
; NumVgprs: 14
; NumAgprs: 0
; TotalNumVgprs: 14
; ScratchSize: 0
; MemoryBound: 0
; FloatMode: 240
; IeeeMode: 1
; LDSByteSize: 0 bytes/workgroup (compile time only)
; SGPRBlocks: 3
; VGPRBlocks: 1
; NumSGPRsForWavesPerEU: 28
; NumVGPRsForWavesPerEU: 14
; AccumOffset: 16
; Occupancy: 8
; WaveLimiterHint : 1
; COMPUTE_PGM_RSRC2:SCRATCH_EN: 0
; COMPUTE_PGM_RSRC2:USER_SGPR: 6
; COMPUTE_PGM_RSRC2:TRAP_HANDLER: 0
; COMPUTE_PGM_RSRC2:TGID_X_EN: 1
; COMPUTE_PGM_RSRC2:TGID_Y_EN: 0
; COMPUTE_PGM_RSRC2:TGID_Z_EN: 1
; COMPUTE_PGM_RSRC2:TIDIG_COMP_CNT: 1
; COMPUTE_PGM_RSRC3_GFX90A:ACCUM_OFFSET: 3
; COMPUTE_PGM_RSRC3_GFX90A:TG_SPLIT: 0
	.section	.text._ZL27rocblas_geam_inplace_deviceILi16ELi16EPK19rocblas_complex_numIdEPKS3_PKPS1_Ev18rocblas_operation_iiT1_SA_T2_lllT3_llli,"axG",@progbits,_ZL27rocblas_geam_inplace_deviceILi16ELi16EPK19rocblas_complex_numIdEPKS3_PKPS1_Ev18rocblas_operation_iiT1_SA_T2_lllT3_llli,comdat
	.globl	_ZL27rocblas_geam_inplace_deviceILi16ELi16EPK19rocblas_complex_numIdEPKS3_PKPS1_Ev18rocblas_operation_iiT1_SA_T2_lllT3_llli ; -- Begin function _ZL27rocblas_geam_inplace_deviceILi16ELi16EPK19rocblas_complex_numIdEPKS3_PKPS1_Ev18rocblas_operation_iiT1_SA_T2_lllT3_llli
	.p2align	8
	.type	_ZL27rocblas_geam_inplace_deviceILi16ELi16EPK19rocblas_complex_numIdEPKS3_PKPS1_Ev18rocblas_operation_iiT1_SA_T2_lllT3_llli,@function
_ZL27rocblas_geam_inplace_deviceILi16ELi16EPK19rocblas_complex_numIdEPKS3_PKPS1_Ev18rocblas_operation_iiT1_SA_T2_lllT3_llli: ; @_ZL27rocblas_geam_inplace_deviceILi16ELi16EPK19rocblas_complex_numIdEPKS3_PKPS1_Ev18rocblas_operation_iiT1_SA_T2_lllT3_llli
; %bb.0:
	s_load_dwordx4 s[16:19], s[4:5], 0x0
	s_mov_b32 s2, s7
	v_and_b32_e32 v2, 0x3ff, v0
	v_bfe_u32 v0, v0, 10, 10
	s_waitcnt lgkmcnt(0)
	s_add_i32 s0, s17, -1
	s_ashr_i32 s1, s0, 31
	s_lshr_b32 s1, s1, 28
	s_add_i32 s0, s0, s1
	s_ashr_i32 s0, s0, 4
	s_add_i32 s1, s0, 1
	v_cvt_f32_u32_e32 v1, s1
	s_not_b32 s0, s0
	v_rcp_iflag_f32_e32 v1, v1
	v_mul_f32_e32 v1, 0x4f7ffffe, v1
	v_cvt_u32_f32_e32 v1, v1
	v_readfirstlane_b32 s3, v1
	s_mul_i32 s0, s0, s3
	s_mul_hi_u32 s0, s3, s0
	s_add_i32 s3, s3, s0
	s_mul_hi_u32 s0, s6, s3
	s_mul_i32 s3, s0, s1
	s_sub_i32 s3, s6, s3
	s_add_i32 s7, s0, 1
	s_sub_i32 s8, s3, s1
	s_cmp_ge_u32 s3, s1
	s_cselect_b32 s0, s7, s0
	s_cselect_b32 s3, s8, s3
	s_add_i32 s7, s0, 1
	s_cmp_ge_u32 s3, s1
	s_cselect_b32 s0, s7, s0
	s_mul_i32 s1, s0, s1
	v_lshl_add_u32 v0, s0, 4, v0
	s_sub_i32 s0, s6, s1
	v_lshl_add_u32 v2, s0, 4, v2
	v_cmp_gt_i32_e32 vcc, s17, v2
	v_cmp_gt_i32_e64 s[0:1], s18, v0
	s_and_b64 s[0:1], vcc, s[0:1]
	s_and_saveexec_b64 s[6:7], s[0:1]
	s_cbranch_execz .LBB65_11
; %bb.1:
	s_load_dwordx4 s[24:27], s[4:5], 0x40
	s_load_dwordx8 s[8:15], s[4:5], 0x10
	s_load_dwordx2 s[18:19], s[4:5], 0x50
	s_mov_b32 s3, 0
	s_lshl_b64 s[6:7], s[2:3], 3
	s_waitcnt lgkmcnt(0)
	s_add_u32 s0, s24, s6
	s_addc_u32 s1, s25, s7
	s_load_dwordx2 s[24:25], s[0:1], 0x0
	s_nop 0
	s_load_dwordx4 s[0:3], s[8:9], 0x0
	s_load_dwordx4 s[20:23], s[10:11], 0x0
	s_lshl_b64 s[8:9], s[26:27], 4
	v_ashrrev_i32_e32 v3, 31, v2
	v_ashrrev_i32_e32 v1, 31, v0
	s_waitcnt lgkmcnt(0)
	s_add_u32 s10, s24, s8
	s_addc_u32 s11, s25, s9
	v_mad_u64_u32 v[4:5], s[8:9], v0, s18, v[2:3]
	v_mul_lo_u32 v6, v0, s19
	v_mul_lo_u32 v7, v1, s18
	v_cmp_eq_f64_e64 s[8:9], s[20:21], 0
	v_cmp_eq_f64_e64 s[18:19], s[22:23], 0
	v_add3_u32 v5, v7, v5, v6
	s_and_b64 s[18:19], s[8:9], s[18:19]
	s_mov_b64 s[8:9], -1
	s_andn2_b64 vcc, exec, s[18:19]
	v_lshlrev_b64 v[4:5], 4, v[4:5]
	s_cbranch_vccz .LBB65_7
; %bb.2:
	s_add_u32 s6, s12, s6
	s_addc_u32 s7, s13, s7
	s_load_dwordx2 s[8:9], s[6:7], 0x0
	s_load_dwordx2 s[12:13], s[4:5], 0x30
	s_lshl_b64 s[4:5], s[14:15], 4
	s_waitcnt lgkmcnt(0)
	s_add_u32 s6, s8, s4
	s_addc_u32 s7, s9, s5
	s_cmpk_eq_i32 s16, 0x6f
	s_cselect_b64 vcc, -1, 0
	v_cndmask_b32_e32 v6, v2, v0, vcc
	v_cndmask_b32_e32 v7, v3, v1, vcc
	v_cndmask_b32_e32 v1, v1, v3, vcc
	v_cndmask_b32_e32 v0, v0, v2, vcc
	v_mul_lo_u32 v7, v7, s12
	v_mul_lo_u32 v8, v6, s13
	v_mad_u64_u32 v[2:3], s[4:5], v6, s12, 0
	v_add3_u32 v3, v3, v8, v7
	v_lshlrev_b64 v[2:3], 4, v[2:3]
	v_mov_b32_e32 v6, s7
	v_add_co_u32_e32 v2, vcc, s6, v2
	v_addc_co_u32_e32 v3, vcc, v6, v3, vcc
	v_lshlrev_b64 v[0:1], 4, v[0:1]
	v_add_co_u32_e32 v0, vcc, v2, v0
	v_addc_co_u32_e32 v1, vcc, v3, v1, vcc
	global_load_dwordx4 v[8:11], v[0:1], off
	v_mov_b32_e32 v0, s11
	v_add_co_u32_e32 v6, vcc, s10, v4
	v_addc_co_u32_e32 v7, vcc, v0, v5, vcc
	s_cmpk_eq_i32 s16, 0x71
	s_cselect_b64 vcc, -1, 0
	v_cmp_eq_f64_e64 s[4:5], s[0:1], 0
	v_cmp_eq_f64_e64 s[6:7], s[2:3], 0
	s_and_b64 s[4:5], s[4:5], s[6:7]
	s_waitcnt vmcnt(0)
	v_xor_b32_e32 v0, 0x80000000, v11
	v_cndmask_b32_e32 v11, v11, v0, vcc
	v_mul_f64 v[0:1], s[22:23], v[10:11]
	v_mul_f64 v[2:3], s[20:21], v[10:11]
	s_andn2_b64 vcc, exec, s[4:5]
	v_fma_f64 v[0:1], s[20:21], v[8:9], -v[0:1]
	v_fmac_f64_e32 v[2:3], s[22:23], v[8:9]
	s_mov_b64 s[4:5], -1
	s_cbranch_vccz .LBB65_4
; %bb.3:
	global_load_dwordx4 v[8:11], v[6:7], off
	s_mov_b64 s[4:5], 0
	s_waitcnt vmcnt(0)
	v_mul_f64 v[12:13], s[2:3], v[10:11]
	v_mul_f64 v[10:11], s[0:1], v[10:11]
	v_fma_f64 v[12:13], s[0:1], v[8:9], -v[12:13]
	v_fmac_f64_e32 v[10:11], s[2:3], v[8:9]
	v_add_f64 v[8:9], v[0:1], v[12:13]
	v_add_f64 v[10:11], v[2:3], v[10:11]
	global_store_dwordx4 v[6:7], v[8:11], off
.LBB65_4:
	s_andn2_b64 vcc, exec, s[4:5]
	s_cbranch_vccnz .LBB65_6
; %bb.5:
	global_store_dwordx4 v[6:7], v[0:3], off
.LBB65_6:
	s_mov_b64 s[8:9], 0
.LBB65_7:
	s_andn2_b64 vcc, exec, s[8:9]
	s_cbranch_vccnz .LBB65_11
; %bb.8:
	v_cmp_neq_f64_e64 s[4:5], s[0:1], 0
	v_cmp_neq_f64_e64 s[6:7], s[2:3], 0
	v_pk_mov_b32 v[0:1], 0, 0
	s_or_b64 s[4:5], s[4:5], s[6:7]
	s_andn2_b64 vcc, exec, s[4:5]
	v_pk_mov_b32 v[2:3], v[0:1], v[0:1] op_sel:[0,1]
	s_cbranch_vccnz .LBB65_10
; %bb.9:
	v_mov_b32_e32 v1, s11
	v_add_co_u32_e32 v0, vcc, s10, v4
	v_addc_co_u32_e32 v1, vcc, v1, v5, vcc
	global_load_dwordx4 v[6:9], v[0:1], off
	s_waitcnt vmcnt(0)
	v_mul_f64 v[0:1], s[2:3], v[8:9]
	v_mul_f64 v[2:3], s[0:1], v[8:9]
	v_fma_f64 v[0:1], s[0:1], v[6:7], -v[0:1]
	v_fmac_f64_e32 v[2:3], s[2:3], v[6:7]
.LBB65_10:
	v_mov_b32_e32 v6, s11
	v_add_co_u32_e32 v4, vcc, s10, v4
	v_addc_co_u32_e32 v5, vcc, v6, v5, vcc
	global_store_dwordx4 v[4:5], v[0:3], off
.LBB65_11:
	s_endpgm
	.section	.rodata,"a",@progbits
	.p2align	6, 0x0
	.amdhsa_kernel _ZL27rocblas_geam_inplace_deviceILi16ELi16EPK19rocblas_complex_numIdEPKS3_PKPS1_Ev18rocblas_operation_iiT1_SA_T2_lllT3_llli
		.amdhsa_group_segment_fixed_size 0
		.amdhsa_private_segment_fixed_size 0
		.amdhsa_kernarg_size 100
		.amdhsa_user_sgpr_count 6
		.amdhsa_user_sgpr_private_segment_buffer 1
		.amdhsa_user_sgpr_dispatch_ptr 0
		.amdhsa_user_sgpr_queue_ptr 0
		.amdhsa_user_sgpr_kernarg_segment_ptr 1
		.amdhsa_user_sgpr_dispatch_id 0
		.amdhsa_user_sgpr_flat_scratch_init 0
		.amdhsa_user_sgpr_kernarg_preload_length 0
		.amdhsa_user_sgpr_kernarg_preload_offset 0
		.amdhsa_user_sgpr_private_segment_size 0
		.amdhsa_uses_dynamic_stack 0
		.amdhsa_system_sgpr_private_segment_wavefront_offset 0
		.amdhsa_system_sgpr_workgroup_id_x 1
		.amdhsa_system_sgpr_workgroup_id_y 0
		.amdhsa_system_sgpr_workgroup_id_z 1
		.amdhsa_system_sgpr_workgroup_info 0
		.amdhsa_system_vgpr_workitem_id 1
		.amdhsa_next_free_vgpr 14
		.amdhsa_next_free_sgpr 28
		.amdhsa_accum_offset 16
		.amdhsa_reserve_vcc 1
		.amdhsa_reserve_flat_scratch 0
		.amdhsa_float_round_mode_32 0
		.amdhsa_float_round_mode_16_64 0
		.amdhsa_float_denorm_mode_32 3
		.amdhsa_float_denorm_mode_16_64 3
		.amdhsa_dx10_clamp 1
		.amdhsa_ieee_mode 1
		.amdhsa_fp16_overflow 0
		.amdhsa_tg_split 0
		.amdhsa_exception_fp_ieee_invalid_op 0
		.amdhsa_exception_fp_denorm_src 0
		.amdhsa_exception_fp_ieee_div_zero 0
		.amdhsa_exception_fp_ieee_overflow 0
		.amdhsa_exception_fp_ieee_underflow 0
		.amdhsa_exception_fp_ieee_inexact 0
		.amdhsa_exception_int_div_zero 0
	.end_amdhsa_kernel
	.section	.text._ZL27rocblas_geam_inplace_deviceILi16ELi16EPK19rocblas_complex_numIdEPKS3_PKPS1_Ev18rocblas_operation_iiT1_SA_T2_lllT3_llli,"axG",@progbits,_ZL27rocblas_geam_inplace_deviceILi16ELi16EPK19rocblas_complex_numIdEPKS3_PKPS1_Ev18rocblas_operation_iiT1_SA_T2_lllT3_llli,comdat
.Lfunc_end65:
	.size	_ZL27rocblas_geam_inplace_deviceILi16ELi16EPK19rocblas_complex_numIdEPKS3_PKPS1_Ev18rocblas_operation_iiT1_SA_T2_lllT3_llli, .Lfunc_end65-_ZL27rocblas_geam_inplace_deviceILi16ELi16EPK19rocblas_complex_numIdEPKS3_PKPS1_Ev18rocblas_operation_iiT1_SA_T2_lllT3_llli
                                        ; -- End function
	.section	.AMDGPU.csdata,"",@progbits
; Kernel info:
; codeLenInByte = 808
; NumSgprs: 32
; NumVgprs: 14
; NumAgprs: 0
; TotalNumVgprs: 14
; ScratchSize: 0
; MemoryBound: 0
; FloatMode: 240
; IeeeMode: 1
; LDSByteSize: 0 bytes/workgroup (compile time only)
; SGPRBlocks: 3
; VGPRBlocks: 1
; NumSGPRsForWavesPerEU: 32
; NumVGPRsForWavesPerEU: 14
; AccumOffset: 16
; Occupancy: 8
; WaveLimiterHint : 1
; COMPUTE_PGM_RSRC2:SCRATCH_EN: 0
; COMPUTE_PGM_RSRC2:USER_SGPR: 6
; COMPUTE_PGM_RSRC2:TRAP_HANDLER: 0
; COMPUTE_PGM_RSRC2:TGID_X_EN: 1
; COMPUTE_PGM_RSRC2:TGID_Y_EN: 0
; COMPUTE_PGM_RSRC2:TGID_Z_EN: 1
; COMPUTE_PGM_RSRC2:TIDIG_COMP_CNT: 1
; COMPUTE_PGM_RSRC3_GFX90A:ACCUM_OFFSET: 3
; COMPUTE_PGM_RSRC3_GFX90A:TG_SPLIT: 0
	.section	.text._ZL30rocblas_geam_1D_2matrix_deviceILi256E19rocblas_complex_numIdEPKPKS1_PKPS1_EvmT0_T1_llT2_lli,"axG",@progbits,_ZL30rocblas_geam_1D_2matrix_deviceILi256E19rocblas_complex_numIdEPKPKS1_PKPS1_EvmT0_T1_llT2_lli,comdat
	.globl	_ZL30rocblas_geam_1D_2matrix_deviceILi256E19rocblas_complex_numIdEPKPKS1_PKPS1_EvmT0_T1_llT2_lli ; -- Begin function _ZL30rocblas_geam_1D_2matrix_deviceILi256E19rocblas_complex_numIdEPKPKS1_PKPS1_EvmT0_T1_llT2_lli
	.p2align	8
	.type	_ZL30rocblas_geam_1D_2matrix_deviceILi256E19rocblas_complex_numIdEPKPKS1_PKPS1_EvmT0_T1_llT2_lli,@function
_ZL30rocblas_geam_1D_2matrix_deviceILi256E19rocblas_complex_numIdEPKPKS1_PKPS1_EvmT0_T1_llT2_lli: ; @_ZL30rocblas_geam_1D_2matrix_deviceILi256E19rocblas_complex_numIdEPKPKS1_PKPS1_EvmT0_T1_llT2_lli
; %bb.0:
	s_load_dword s0, s[4:5], 0x5c
	s_load_dwordx8 s[8:15], s[4:5], 0x0
	v_mov_b32_e32 v1, 0
	v_mov_b32_e32 v2, s6
	s_waitcnt lgkmcnt(0)
	s_and_b32 s0, s0, 0xffff
	v_mad_u64_u32 v[2:3], s[0:1], s0, v2, v[0:1]
	v_cmp_gt_u64_e32 vcc, s[8:9], v[2:3]
	s_and_saveexec_b64 s[0:1], vcc
	s_cbranch_execz .LBB66_4
; %bb.1:
	s_mov_b32 s16, s7
	s_load_dwordx4 s[0:3], s[4:5], 0x30
	s_load_dwordx2 s[6:7], s[4:5], 0x20
	s_mov_b32 s17, 0
	s_lshl_b64 s[4:5], s[16:17], 3
	v_cmp_eq_f64_e64 s[8:9], s[10:11], 0
	s_waitcnt lgkmcnt(0)
	s_add_u32 s0, s0, s4
	s_addc_u32 s1, s1, s5
	s_load_dwordx2 s[0:1], s[0:1], 0x0
	v_cmp_eq_f64_e64 s[16:17], s[12:13], 0
	v_pk_mov_b32 v[0:1], 0, 0
	s_and_b64 s[8:9], s[8:9], s[16:17]
	s_and_b64 vcc, exec, s[8:9]
	v_lshlrev_b64 v[4:5], 4, v[2:3]
	v_pk_mov_b32 v[2:3], v[0:1], v[0:1] op_sel:[0,1]
	s_cbranch_vccnz .LBB66_3
; %bb.2:
	s_add_u32 s4, s14, s4
	s_addc_u32 s5, s15, s5
	s_load_dwordx2 s[4:5], s[4:5], 0x0
	s_lshl_b64 s[6:7], s[6:7], 4
	s_waitcnt lgkmcnt(0)
	s_add_u32 s4, s4, s6
	s_addc_u32 s5, s5, s7
	v_mov_b32_e32 v1, s5
	v_add_co_u32_e32 v0, vcc, s4, v4
	v_addc_co_u32_e32 v1, vcc, v1, v5, vcc
	global_load_dwordx4 v[6:9], v[0:1], off
	s_waitcnt vmcnt(0)
	v_mul_f64 v[0:1], s[12:13], v[8:9]
	v_mul_f64 v[2:3], s[10:11], v[8:9]
	v_fma_f64 v[0:1], s[10:11], v[6:7], -v[0:1]
	v_fmac_f64_e32 v[2:3], s[12:13], v[6:7]
.LBB66_3:
	s_lshl_b64 s[2:3], s[2:3], 4
	s_waitcnt lgkmcnt(0)
	s_add_u32 s0, s0, s2
	s_addc_u32 s1, s1, s3
	v_mov_b32_e32 v6, s1
	v_add_co_u32_e32 v4, vcc, s0, v4
	v_addc_co_u32_e32 v5, vcc, v6, v5, vcc
	global_store_dwordx4 v[4:5], v[0:3], off
.LBB66_4:
	s_endpgm
	.section	.rodata,"a",@progbits
	.p2align	6, 0x0
	.amdhsa_kernel _ZL30rocblas_geam_1D_2matrix_deviceILi256E19rocblas_complex_numIdEPKPKS1_PKPS1_EvmT0_T1_llT2_lli
		.amdhsa_group_segment_fixed_size 0
		.amdhsa_private_segment_fixed_size 0
		.amdhsa_kernarg_size 336
		.amdhsa_user_sgpr_count 6
		.amdhsa_user_sgpr_private_segment_buffer 1
		.amdhsa_user_sgpr_dispatch_ptr 0
		.amdhsa_user_sgpr_queue_ptr 0
		.amdhsa_user_sgpr_kernarg_segment_ptr 1
		.amdhsa_user_sgpr_dispatch_id 0
		.amdhsa_user_sgpr_flat_scratch_init 0
		.amdhsa_user_sgpr_kernarg_preload_length 0
		.amdhsa_user_sgpr_kernarg_preload_offset 0
		.amdhsa_user_sgpr_private_segment_size 0
		.amdhsa_uses_dynamic_stack 0
		.amdhsa_system_sgpr_private_segment_wavefront_offset 0
		.amdhsa_system_sgpr_workgroup_id_x 1
		.amdhsa_system_sgpr_workgroup_id_y 0
		.amdhsa_system_sgpr_workgroup_id_z 1
		.amdhsa_system_sgpr_workgroup_info 0
		.amdhsa_system_vgpr_workitem_id 0
		.amdhsa_next_free_vgpr 10
		.amdhsa_next_free_sgpr 18
		.amdhsa_accum_offset 12
		.amdhsa_reserve_vcc 1
		.amdhsa_reserve_flat_scratch 0
		.amdhsa_float_round_mode_32 0
		.amdhsa_float_round_mode_16_64 0
		.amdhsa_float_denorm_mode_32 3
		.amdhsa_float_denorm_mode_16_64 3
		.amdhsa_dx10_clamp 1
		.amdhsa_ieee_mode 1
		.amdhsa_fp16_overflow 0
		.amdhsa_tg_split 0
		.amdhsa_exception_fp_ieee_invalid_op 0
		.amdhsa_exception_fp_denorm_src 0
		.amdhsa_exception_fp_ieee_div_zero 0
		.amdhsa_exception_fp_ieee_overflow 0
		.amdhsa_exception_fp_ieee_underflow 0
		.amdhsa_exception_fp_ieee_inexact 0
		.amdhsa_exception_int_div_zero 0
	.end_amdhsa_kernel
	.section	.text._ZL30rocblas_geam_1D_2matrix_deviceILi256E19rocblas_complex_numIdEPKPKS1_PKPS1_EvmT0_T1_llT2_lli,"axG",@progbits,_ZL30rocblas_geam_1D_2matrix_deviceILi256E19rocblas_complex_numIdEPKPKS1_PKPS1_EvmT0_T1_llT2_lli,comdat
.Lfunc_end66:
	.size	_ZL30rocblas_geam_1D_2matrix_deviceILi256E19rocblas_complex_numIdEPKPKS1_PKPS1_EvmT0_T1_llT2_lli, .Lfunc_end66-_ZL30rocblas_geam_1D_2matrix_deviceILi256E19rocblas_complex_numIdEPKPKS1_PKPS1_EvmT0_T1_llT2_lli
                                        ; -- End function
	.section	.AMDGPU.csdata,"",@progbits
; Kernel info:
; codeLenInByte = 280
; NumSgprs: 22
; NumVgprs: 10
; NumAgprs: 0
; TotalNumVgprs: 10
; ScratchSize: 0
; MemoryBound: 0
; FloatMode: 240
; IeeeMode: 1
; LDSByteSize: 0 bytes/workgroup (compile time only)
; SGPRBlocks: 2
; VGPRBlocks: 1
; NumSGPRsForWavesPerEU: 22
; NumVGPRsForWavesPerEU: 10
; AccumOffset: 12
; Occupancy: 8
; WaveLimiterHint : 1
; COMPUTE_PGM_RSRC2:SCRATCH_EN: 0
; COMPUTE_PGM_RSRC2:USER_SGPR: 6
; COMPUTE_PGM_RSRC2:TRAP_HANDLER: 0
; COMPUTE_PGM_RSRC2:TGID_X_EN: 1
; COMPUTE_PGM_RSRC2:TGID_Y_EN: 0
; COMPUTE_PGM_RSRC2:TGID_Z_EN: 1
; COMPUTE_PGM_RSRC2:TIDIG_COMP_CNT: 0
; COMPUTE_PGM_RSRC3_GFX90A:ACCUM_OFFSET: 2
; COMPUTE_PGM_RSRC3_GFX90A:TG_SPLIT: 0
	.section	.text._ZL27rocblas_geam_2matrix_deviceILi16ELi16E19rocblas_complex_numIdEPKPKS1_PKPS1_Ev18rocblas_operation_iiT1_T2_lllT3_llli,"axG",@progbits,_ZL27rocblas_geam_2matrix_deviceILi16ELi16E19rocblas_complex_numIdEPKPKS1_PKPS1_Ev18rocblas_operation_iiT1_T2_lllT3_llli,comdat
	.globl	_ZL27rocblas_geam_2matrix_deviceILi16ELi16E19rocblas_complex_numIdEPKPKS1_PKPS1_Ev18rocblas_operation_iiT1_T2_lllT3_llli ; -- Begin function _ZL27rocblas_geam_2matrix_deviceILi16ELi16E19rocblas_complex_numIdEPKPKS1_PKPS1_Ev18rocblas_operation_iiT1_T2_lllT3_llli
	.p2align	8
	.type	_ZL27rocblas_geam_2matrix_deviceILi16ELi16E19rocblas_complex_numIdEPKPKS1_PKPS1_Ev18rocblas_operation_iiT1_T2_lllT3_llli,@function
_ZL27rocblas_geam_2matrix_deviceILi16ELi16E19rocblas_complex_numIdEPKPKS1_PKPS1_Ev18rocblas_operation_iiT1_T2_lllT3_llli: ; @_ZL27rocblas_geam_2matrix_deviceILi16ELi16E19rocblas_complex_numIdEPKPKS1_PKPS1_Ev18rocblas_operation_iiT1_T2_lllT3_llli
; %bb.0:
	s_load_dwordx4 s[16:19], s[4:5], 0x0
	s_mov_b32 s20, s7
	v_and_b32_e32 v2, 0x3ff, v0
	v_bfe_u32 v0, v0, 10, 10
	s_waitcnt lgkmcnt(0)
	s_add_i32 s0, s17, -1
	s_ashr_i32 s1, s0, 31
	s_lshr_b32 s1, s1, 28
	s_add_i32 s0, s0, s1
	s_ashr_i32 s0, s0, 4
	s_add_i32 s1, s0, 1
	v_cvt_f32_u32_e32 v1, s1
	s_not_b32 s0, s0
	v_rcp_iflag_f32_e32 v1, v1
	v_mul_f32_e32 v1, 0x4f7ffffe, v1
	v_cvt_u32_f32_e32 v1, v1
	v_readfirstlane_b32 s2, v1
	s_mul_i32 s0, s0, s2
	s_mul_hi_u32 s0, s2, s0
	s_add_i32 s2, s2, s0
	s_mul_hi_u32 s0, s6, s2
	s_mul_i32 s2, s0, s1
	s_sub_i32 s2, s6, s2
	s_add_i32 s3, s0, 1
	s_sub_i32 s7, s2, s1
	s_cmp_ge_u32 s2, s1
	s_cselect_b32 s0, s3, s0
	s_cselect_b32 s2, s7, s2
	s_add_i32 s3, s0, 1
	s_cmp_ge_u32 s2, s1
	s_cselect_b32 s0, s3, s0
	s_mul_i32 s1, s0, s1
	v_lshl_add_u32 v6, s0, 4, v0
	s_sub_i32 s0, s6, s1
	v_lshl_add_u32 v4, s0, 4, v2
	v_cmp_gt_i32_e32 vcc, s17, v4
	v_cmp_gt_i32_e64 s[0:1], s18, v6
	s_and_b64 s[0:1], vcc, s[0:1]
	s_and_saveexec_b64 s[2:3], s[0:1]
	s_cbranch_execz .LBB67_4
; %bb.1:
	s_load_dwordx4 s[0:3], s[4:5], 0x40
	s_load_dwordx8 s[8:15], s[4:5], 0x10
	s_load_dwordx2 s[6:7], s[4:5], 0x50
	s_mov_b32 s21, 0
	s_lshl_b64 s[18:19], s[20:21], 3
	s_waitcnt lgkmcnt(0)
	s_add_u32 s0, s0, s18
	s_addc_u32 s1, s1, s19
	s_load_dwordx2 s[0:1], s[0:1], 0x0
	v_cmp_eq_f64_e64 s[20:21], s[8:9], 0
	v_cmp_eq_f64_e64 s[22:23], s[10:11], 0
	v_pk_mov_b32 v[0:1], 0, 0
	s_and_b64 s[20:21], s[20:21], s[22:23]
	v_ashrrev_i32_e32 v5, 31, v4
	v_ashrrev_i32_e32 v7, 31, v6
	s_and_b64 vcc, exec, s[20:21]
	v_pk_mov_b32 v[2:3], v[0:1], v[0:1] op_sel:[0,1]
	s_cbranch_vccnz .LBB67_3
; %bb.2:
	s_add_u32 s12, s12, s18
	s_addc_u32 s13, s13, s19
	s_load_dwordx2 s[18:19], s[12:13], 0x0
	s_load_dwordx2 s[20:21], s[4:5], 0x30
	s_lshl_b64 s[4:5], s[14:15], 4
	s_waitcnt lgkmcnt(0)
	s_add_u32 s12, s18, s4
	s_addc_u32 s13, s19, s5
	s_cmpk_eq_i32 s16, 0x6f
	s_cselect_b64 vcc, -1, 0
	v_cndmask_b32_e32 v2, v4, v6, vcc
	v_cndmask_b32_e32 v3, v5, v7, vcc
	v_mul_lo_u32 v8, v3, s20
	v_mul_lo_u32 v9, v2, s21
	v_mad_u64_u32 v[2:3], s[4:5], v2, s20, 0
	v_add3_u32 v3, v3, v9, v8
	v_lshlrev_b64 v[2:3], 4, v[2:3]
	v_cndmask_b32_e32 v1, v7, v5, vcc
	v_cndmask_b32_e32 v0, v6, v4, vcc
	v_mov_b32_e32 v8, s13
	v_add_co_u32_e32 v2, vcc, s12, v2
	v_addc_co_u32_e32 v3, vcc, v8, v3, vcc
	v_lshlrev_b64 v[0:1], 4, v[0:1]
	v_add_co_u32_e32 v0, vcc, v2, v0
	v_addc_co_u32_e32 v1, vcc, v3, v1, vcc
	global_load_dwordx4 v[8:11], v[0:1], off
	s_cmpk_eq_i32 s16, 0x71
	s_cselect_b64 vcc, -1, 0
	s_waitcnt vmcnt(0)
	v_xor_b32_e32 v0, 0x80000000, v11
	v_cndmask_b32_e32 v11, v11, v0, vcc
	v_mul_f64 v[0:1], s[10:11], v[10:11]
	v_mul_f64 v[2:3], s[8:9], v[10:11]
	v_fma_f64 v[0:1], s[8:9], v[8:9], -v[0:1]
	v_fmac_f64_e32 v[2:3], s[10:11], v[8:9]
.LBB67_3:
	s_lshl_b64 s[2:3], s[2:3], 4
	s_waitcnt lgkmcnt(0)
	s_add_u32 s2, s0, s2
	s_addc_u32 s3, s1, s3
	v_mul_lo_u32 v8, v7, s6
	v_mul_lo_u32 v9, v6, s7
	v_mad_u64_u32 v[6:7], s[0:1], v6, s6, 0
	v_add3_u32 v7, v7, v9, v8
	v_lshlrev_b64 v[6:7], 4, v[6:7]
	v_mov_b32_e32 v8, s3
	v_add_co_u32_e32 v6, vcc, s2, v6
	v_addc_co_u32_e32 v7, vcc, v8, v7, vcc
	v_lshlrev_b64 v[4:5], 4, v[4:5]
	v_add_co_u32_e32 v4, vcc, v6, v4
	v_addc_co_u32_e32 v5, vcc, v7, v5, vcc
	global_store_dwordx4 v[4:5], v[0:3], off
.LBB67_4:
	s_endpgm
	.section	.rodata,"a",@progbits
	.p2align	6, 0x0
	.amdhsa_kernel _ZL27rocblas_geam_2matrix_deviceILi16ELi16E19rocblas_complex_numIdEPKPKS1_PKPS1_Ev18rocblas_operation_iiT1_T2_lllT3_llli
		.amdhsa_group_segment_fixed_size 0
		.amdhsa_private_segment_fixed_size 0
		.amdhsa_kernarg_size 100
		.amdhsa_user_sgpr_count 6
		.amdhsa_user_sgpr_private_segment_buffer 1
		.amdhsa_user_sgpr_dispatch_ptr 0
		.amdhsa_user_sgpr_queue_ptr 0
		.amdhsa_user_sgpr_kernarg_segment_ptr 1
		.amdhsa_user_sgpr_dispatch_id 0
		.amdhsa_user_sgpr_flat_scratch_init 0
		.amdhsa_user_sgpr_kernarg_preload_length 0
		.amdhsa_user_sgpr_kernarg_preload_offset 0
		.amdhsa_user_sgpr_private_segment_size 0
		.amdhsa_uses_dynamic_stack 0
		.amdhsa_system_sgpr_private_segment_wavefront_offset 0
		.amdhsa_system_sgpr_workgroup_id_x 1
		.amdhsa_system_sgpr_workgroup_id_y 0
		.amdhsa_system_sgpr_workgroup_id_z 1
		.amdhsa_system_sgpr_workgroup_info 0
		.amdhsa_system_vgpr_workitem_id 1
		.amdhsa_next_free_vgpr 12
		.amdhsa_next_free_sgpr 24
		.amdhsa_accum_offset 12
		.amdhsa_reserve_vcc 1
		.amdhsa_reserve_flat_scratch 0
		.amdhsa_float_round_mode_32 0
		.amdhsa_float_round_mode_16_64 0
		.amdhsa_float_denorm_mode_32 3
		.amdhsa_float_denorm_mode_16_64 3
		.amdhsa_dx10_clamp 1
		.amdhsa_ieee_mode 1
		.amdhsa_fp16_overflow 0
		.amdhsa_tg_split 0
		.amdhsa_exception_fp_ieee_invalid_op 0
		.amdhsa_exception_fp_denorm_src 0
		.amdhsa_exception_fp_ieee_div_zero 0
		.amdhsa_exception_fp_ieee_overflow 0
		.amdhsa_exception_fp_ieee_underflow 0
		.amdhsa_exception_fp_ieee_inexact 0
		.amdhsa_exception_int_div_zero 0
	.end_amdhsa_kernel
	.section	.text._ZL27rocblas_geam_2matrix_deviceILi16ELi16E19rocblas_complex_numIdEPKPKS1_PKPS1_Ev18rocblas_operation_iiT1_T2_lllT3_llli,"axG",@progbits,_ZL27rocblas_geam_2matrix_deviceILi16ELi16E19rocblas_complex_numIdEPKPKS1_PKPS1_Ev18rocblas_operation_iiT1_T2_lllT3_llli,comdat
.Lfunc_end67:
	.size	_ZL27rocblas_geam_2matrix_deviceILi16ELi16E19rocblas_complex_numIdEPKPKS1_PKPS1_Ev18rocblas_operation_iiT1_T2_lllT3_llli, .Lfunc_end67-_ZL27rocblas_geam_2matrix_deviceILi16ELi16E19rocblas_complex_numIdEPKPKS1_PKPS1_Ev18rocblas_operation_iiT1_T2_lllT3_llli
                                        ; -- End function
	.section	.AMDGPU.csdata,"",@progbits
; Kernel info:
; codeLenInByte = 580
; NumSgprs: 28
; NumVgprs: 12
; NumAgprs: 0
; TotalNumVgprs: 12
; ScratchSize: 0
; MemoryBound: 0
; FloatMode: 240
; IeeeMode: 1
; LDSByteSize: 0 bytes/workgroup (compile time only)
; SGPRBlocks: 3
; VGPRBlocks: 1
; NumSGPRsForWavesPerEU: 28
; NumVGPRsForWavesPerEU: 12
; AccumOffset: 12
; Occupancy: 8
; WaveLimiterHint : 1
; COMPUTE_PGM_RSRC2:SCRATCH_EN: 0
; COMPUTE_PGM_RSRC2:USER_SGPR: 6
; COMPUTE_PGM_RSRC2:TRAP_HANDLER: 0
; COMPUTE_PGM_RSRC2:TGID_X_EN: 1
; COMPUTE_PGM_RSRC2:TGID_Y_EN: 0
; COMPUTE_PGM_RSRC2:TGID_Z_EN: 1
; COMPUTE_PGM_RSRC2:TIDIG_COMP_CNT: 1
; COMPUTE_PGM_RSRC3_GFX90A:ACCUM_OFFSET: 2
; COMPUTE_PGM_RSRC3_GFX90A:TG_SPLIT: 0
	.section	.text._ZL22rocblas_geam_1D_deviceILi256E19rocblas_complex_numIdEPKPKS1_PKPS1_EvmT0_T1_llS9_SA_llT2_lli,"axG",@progbits,_ZL22rocblas_geam_1D_deviceILi256E19rocblas_complex_numIdEPKPKS1_PKPS1_EvmT0_T1_llS9_SA_llT2_lli,comdat
	.globl	_ZL22rocblas_geam_1D_deviceILi256E19rocblas_complex_numIdEPKPKS1_PKPS1_EvmT0_T1_llS9_SA_llT2_lli ; -- Begin function _ZL22rocblas_geam_1D_deviceILi256E19rocblas_complex_numIdEPKPKS1_PKPS1_EvmT0_T1_llS9_SA_llT2_lli
	.p2align	8
	.type	_ZL22rocblas_geam_1D_deviceILi256E19rocblas_complex_numIdEPKPKS1_PKPS1_EvmT0_T1_llS9_SA_llT2_lli,@function
_ZL22rocblas_geam_1D_deviceILi256E19rocblas_complex_numIdEPKPKS1_PKPS1_EvmT0_T1_llS9_SA_llT2_lli: ; @_ZL22rocblas_geam_1D_deviceILi256E19rocblas_complex_numIdEPKPKS1_PKPS1_EvmT0_T1_llS9_SA_llT2_lli
; %bb.0:
	s_load_dword s1, s[4:5], 0x84
	s_load_dwordx8 s[8:15], s[4:5], 0x0
	v_mov_b32_e32 v1, 0
	v_mov_b32_e32 v2, s6
	s_waitcnt lgkmcnt(0)
	s_and_b32 s1, s1, 0xffff
	v_mad_u64_u32 v[4:5], s[2:3], s1, v2, v[0:1]
	v_cmp_gt_u64_e32 vcc, s[8:9], v[4:5]
	s_and_saveexec_b64 s[2:3], vcc
	s_cbranch_execz .LBB68_15
; %bb.1:
	s_load_dwordx4 s[24:27], s[4:5], 0x58
	s_load_dwordx2 s[2:3], s[4:5], 0x20
	s_load_dwordx8 s[16:23], s[4:5], 0x30
	s_mov_b32 s0, s7
	s_mov_b32 s1, 0
	s_lshl_b64 s[8:9], s[0:1], 3
	s_waitcnt lgkmcnt(0)
	s_add_u32 s0, s24, s8
	s_addc_u32 s1, s25, s9
	v_cmp_eq_f64_e64 s[4:5], s[10:11], 0
	v_cmp_eq_f64_e64 s[24:25], s[12:13], 0
	s_and_b64 s[4:5], s[4:5], s[24:25]
	s_mov_b64 s[6:7], 0
	s_andn2_b64 vcc, exec, s[4:5]
	v_cmp_neq_f64_e64 s[4:5], s[16:17], 0
	v_cmp_neq_f64_e64 s[24:25], s[18:19], 0
	s_cbranch_vccnz .LBB68_3
; %bb.2:
	s_or_b64 s[24:25], s[4:5], s[24:25]
	s_branch .LBB68_4
.LBB68_3:
	s_mov_b64 s[24:25], -1
                                        ; implicit-def: $sgpr6_sgpr7
.LBB68_4:
	s_load_dwordx2 s[4:5], s[0:1], 0x0
	s_andn2_b64 vcc, exec, s[24:25]
	v_pk_mov_b32 v[2:3], s[6:7], s[6:7] op_sel:[0,1]
	v_pk_mov_b32 v[0:1], s[6:7], s[6:7] op_sel:[0,1]
	s_cbranch_vccnz .LBB68_14
; %bb.5:
	v_cmp_neq_f64_e64 s[0:1], s[10:11], 0
	v_cmp_neq_f64_e64 s[6:7], s[12:13], 0
	s_or_b64 s[6:7], s[0:1], s[6:7]
	v_cndmask_b32_e64 v0, 0, 1, s[6:7]
	s_mov_b64 s[24:25], 0
	v_cmp_ne_u32_e64 s[0:1], 1, v0
	s_andn2_b64 vcc, exec, s[6:7]
	s_mov_b64 s[6:7], 0
	s_cbranch_vccnz .LBB68_7
; %bb.6:
	s_add_u32 s6, s14, s8
	s_addc_u32 s7, s15, s9
	s_load_dwordx2 s[6:7], s[6:7], 0x0
	s_lshl_b64 s[2:3], s[2:3], 4
	s_waitcnt lgkmcnt(0)
	s_add_u32 s6, s6, s2
	s_addc_u32 s7, s7, s3
.LBB68_7:
	v_cmp_neq_f64_e64 s[2:3], s[16:17], 0
	v_cmp_neq_f64_e64 s[14:15], s[18:19], 0
	s_or_b64 s[14:15], s[2:3], s[14:15]
	v_cndmask_b32_e64 v0, 0, 1, s[14:15]
	v_cmp_ne_u32_e64 s[2:3], 1, v0
	s_andn2_b64 vcc, exec, s[14:15]
	s_cbranch_vccnz .LBB68_9
; %bb.8:
	s_add_u32 s8, s20, s8
	s_addc_u32 s9, s21, s9
	s_load_dwordx2 s[8:9], s[8:9], 0x0
	s_lshl_b64 s[14:15], s[22:23], 4
	s_waitcnt lgkmcnt(0)
	s_add_u32 s24, s8, s14
	s_addc_u32 s25, s9, s15
.LBB68_9:
	v_pk_mov_b32 v[2:3], 0, 0
	s_and_b64 vcc, exec, s[2:3]
	v_pk_mov_b32 v[6:7], v[2:3], v[2:3] op_sel:[0,1]
	v_pk_mov_b32 v[0:1], v[2:3], v[2:3] op_sel:[0,1]
	s_cbranch_vccnz .LBB68_11
; %bb.10:
	v_lshlrev_b64 v[0:1], 4, v[4:5]
	v_mov_b32_e32 v6, s25
	v_add_co_u32_e32 v0, vcc, s24, v0
	v_addc_co_u32_e32 v1, vcc, v6, v1, vcc
	flat_load_dwordx4 v[8:11], v[0:1]
	s_waitcnt vmcnt(0) lgkmcnt(0)
	v_mul_f64 v[0:1], s[18:19], v[10:11]
	v_mul_f64 v[6:7], s[16:17], v[10:11]
	v_fma_f64 v[0:1], s[16:17], v[8:9], -v[0:1]
	v_fmac_f64_e32 v[6:7], s[18:19], v[8:9]
.LBB68_11:
	s_and_b64 vcc, exec, s[0:1]
	v_pk_mov_b32 v[8:9], v[2:3], v[2:3] op_sel:[0,1]
	s_cbranch_vccnz .LBB68_13
; %bb.12:
	v_lshlrev_b64 v[2:3], 4, v[4:5]
	v_mov_b32_e32 v8, s7
	v_add_co_u32_e32 v2, vcc, s6, v2
	v_addc_co_u32_e32 v3, vcc, v8, v3, vcc
	flat_load_dwordx4 v[10:13], v[2:3]
	s_waitcnt vmcnt(0) lgkmcnt(0)
	v_mul_f64 v[8:9], s[12:13], v[12:13]
	v_mul_f64 v[2:3], s[10:11], v[12:13]
	v_fma_f64 v[8:9], s[10:11], v[10:11], -v[8:9]
	v_fmac_f64_e32 v[2:3], s[12:13], v[10:11]
.LBB68_13:
	v_add_f64 v[0:1], v[0:1], v[8:9]
	v_add_f64 v[2:3], v[6:7], v[2:3]
.LBB68_14:
	s_lshl_b64 s[0:1], s[26:27], 4
	s_waitcnt lgkmcnt(0)
	s_add_u32 s0, s4, s0
	s_addc_u32 s1, s5, s1
	v_lshlrev_b64 v[4:5], 4, v[4:5]
	v_mov_b32_e32 v6, s1
	v_add_co_u32_e32 v4, vcc, s0, v4
	v_addc_co_u32_e32 v5, vcc, v6, v5, vcc
	global_store_dwordx4 v[4:5], v[0:3], off
.LBB68_15:
	s_endpgm
	.section	.rodata,"a",@progbits
	.p2align	6, 0x0
	.amdhsa_kernel _ZL22rocblas_geam_1D_deviceILi256E19rocblas_complex_numIdEPKPKS1_PKPS1_EvmT0_T1_llS9_SA_llT2_lli
		.amdhsa_group_segment_fixed_size 0
		.amdhsa_private_segment_fixed_size 0
		.amdhsa_kernarg_size 376
		.amdhsa_user_sgpr_count 6
		.amdhsa_user_sgpr_private_segment_buffer 1
		.amdhsa_user_sgpr_dispatch_ptr 0
		.amdhsa_user_sgpr_queue_ptr 0
		.amdhsa_user_sgpr_kernarg_segment_ptr 1
		.amdhsa_user_sgpr_dispatch_id 0
		.amdhsa_user_sgpr_flat_scratch_init 0
		.amdhsa_user_sgpr_kernarg_preload_length 0
		.amdhsa_user_sgpr_kernarg_preload_offset 0
		.amdhsa_user_sgpr_private_segment_size 0
		.amdhsa_uses_dynamic_stack 0
		.amdhsa_system_sgpr_private_segment_wavefront_offset 0
		.amdhsa_system_sgpr_workgroup_id_x 1
		.amdhsa_system_sgpr_workgroup_id_y 0
		.amdhsa_system_sgpr_workgroup_id_z 1
		.amdhsa_system_sgpr_workgroup_info 0
		.amdhsa_system_vgpr_workitem_id 0
		.amdhsa_next_free_vgpr 14
		.amdhsa_next_free_sgpr 28
		.amdhsa_accum_offset 16
		.amdhsa_reserve_vcc 1
		.amdhsa_reserve_flat_scratch 0
		.amdhsa_float_round_mode_32 0
		.amdhsa_float_round_mode_16_64 0
		.amdhsa_float_denorm_mode_32 3
		.amdhsa_float_denorm_mode_16_64 3
		.amdhsa_dx10_clamp 1
		.amdhsa_ieee_mode 1
		.amdhsa_fp16_overflow 0
		.amdhsa_tg_split 0
		.amdhsa_exception_fp_ieee_invalid_op 0
		.amdhsa_exception_fp_denorm_src 0
		.amdhsa_exception_fp_ieee_div_zero 0
		.amdhsa_exception_fp_ieee_overflow 0
		.amdhsa_exception_fp_ieee_underflow 0
		.amdhsa_exception_fp_ieee_inexact 0
		.amdhsa_exception_int_div_zero 0
	.end_amdhsa_kernel
	.section	.text._ZL22rocblas_geam_1D_deviceILi256E19rocblas_complex_numIdEPKPKS1_PKPS1_EvmT0_T1_llS9_SA_llT2_lli,"axG",@progbits,_ZL22rocblas_geam_1D_deviceILi256E19rocblas_complex_numIdEPKPKS1_PKPS1_EvmT0_T1_llS9_SA_llT2_lli,comdat
.Lfunc_end68:
	.size	_ZL22rocblas_geam_1D_deviceILi256E19rocblas_complex_numIdEPKPKS1_PKPS1_EvmT0_T1_llS9_SA_llT2_lli, .Lfunc_end68-_ZL22rocblas_geam_1D_deviceILi256E19rocblas_complex_numIdEPKPKS1_PKPS1_EvmT0_T1_llS9_SA_llT2_lli
                                        ; -- End function
	.section	.AMDGPU.csdata,"",@progbits
; Kernel info:
; codeLenInByte = 588
; NumSgprs: 32
; NumVgprs: 14
; NumAgprs: 0
; TotalNumVgprs: 14
; ScratchSize: 0
; MemoryBound: 0
; FloatMode: 240
; IeeeMode: 1
; LDSByteSize: 0 bytes/workgroup (compile time only)
; SGPRBlocks: 3
; VGPRBlocks: 1
; NumSGPRsForWavesPerEU: 32
; NumVGPRsForWavesPerEU: 14
; AccumOffset: 16
; Occupancy: 8
; WaveLimiterHint : 1
; COMPUTE_PGM_RSRC2:SCRATCH_EN: 0
; COMPUTE_PGM_RSRC2:USER_SGPR: 6
; COMPUTE_PGM_RSRC2:TRAP_HANDLER: 0
; COMPUTE_PGM_RSRC2:TGID_X_EN: 1
; COMPUTE_PGM_RSRC2:TGID_Y_EN: 0
; COMPUTE_PGM_RSRC2:TGID_Z_EN: 1
; COMPUTE_PGM_RSRC2:TIDIG_COMP_CNT: 0
; COMPUTE_PGM_RSRC3_GFX90A:ACCUM_OFFSET: 3
; COMPUTE_PGM_RSRC3_GFX90A:TG_SPLIT: 0
	.section	.text._ZL22rocblas_geam_1D_deviceILi256EPK19rocblas_complex_numIdEPKS3_PKPS1_EvmT0_T1_llS9_SA_llT2_lli,"axG",@progbits,_ZL22rocblas_geam_1D_deviceILi256EPK19rocblas_complex_numIdEPKS3_PKPS1_EvmT0_T1_llS9_SA_llT2_lli,comdat
	.globl	_ZL22rocblas_geam_1D_deviceILi256EPK19rocblas_complex_numIdEPKS3_PKPS1_EvmT0_T1_llS9_SA_llT2_lli ; -- Begin function _ZL22rocblas_geam_1D_deviceILi256EPK19rocblas_complex_numIdEPKS3_PKPS1_EvmT0_T1_llS9_SA_llT2_lli
	.p2align	8
	.type	_ZL22rocblas_geam_1D_deviceILi256EPK19rocblas_complex_numIdEPKS3_PKPS1_EvmT0_T1_llS9_SA_llT2_lli,@function
_ZL22rocblas_geam_1D_deviceILi256EPK19rocblas_complex_numIdEPKS3_PKPS1_EvmT0_T1_llS9_SA_llT2_lli: ; @_ZL22rocblas_geam_1D_deviceILi256EPK19rocblas_complex_numIdEPKS3_PKPS1_EvmT0_T1_llS9_SA_llT2_lli
; %bb.0:
	s_load_dword s1, s[4:5], 0x74
	s_load_dwordx8 s[8:15], s[4:5], 0x0
	v_mov_b32_e32 v1, 0
	v_mov_b32_e32 v2, s6
	s_waitcnt lgkmcnt(0)
	s_and_b32 s1, s1, 0xffff
	v_mad_u64_u32 v[4:5], s[2:3], s1, v2, v[0:1]
	v_cmp_gt_u64_e32 vcc, s[8:9], v[4:5]
	s_and_saveexec_b64 s[2:3], vcc
	s_cbranch_execz .LBB69_15
; %bb.1:
	s_load_dwordx4 s[24:27], s[4:5], 0x28
	s_load_dwordx4 s[16:19], s[4:5], 0x48
	;; [unrolled: 1-line block ×3, first 2 shown]
	s_mov_b32 s0, s7
	s_mov_b32 s1, 0
	s_waitcnt lgkmcnt(0)
	s_load_dwordx4 s[8:11], s[24:25], 0x0
	s_lshl_b64 s[28:29], s[0:1], 3
	s_add_u32 s0, s16, s28
	s_addc_u32 s1, s17, s29
	v_cmp_eq_f64_e64 s[6:7], s[20:21], 0
	v_cmp_eq_f64_e64 s[16:17], s[22:23], 0
	s_and_b64 s[6:7], s[6:7], s[16:17]
	s_mov_b64 s[2:3], 0
	s_andn2_b64 vcc, exec, s[6:7]
	s_waitcnt lgkmcnt(0)
	v_cmp_neq_f64_e64 s[6:7], s[8:9], 0
	v_cmp_neq_f64_e64 s[16:17], s[10:11], 0
	s_cbranch_vccnz .LBB69_3
; %bb.2:
	s_or_b64 s[16:17], s[6:7], s[16:17]
	s_branch .LBB69_4
.LBB69_3:
	s_mov_b64 s[16:17], -1
                                        ; implicit-def: $sgpr2_sgpr3
.LBB69_4:
	s_load_dwordx2 s[6:7], s[0:1], 0x0
	s_andn2_b64 vcc, exec, s[16:17]
	v_pk_mov_b32 v[2:3], s[2:3], s[2:3] op_sel:[0,1]
	v_pk_mov_b32 v[0:1], s[2:3], s[2:3] op_sel:[0,1]
	s_cbranch_vccnz .LBB69_14
; %bb.5:
	v_cmp_neq_f64_e64 s[0:1], s[20:21], 0
	v_cmp_neq_f64_e64 s[2:3], s[22:23], 0
	s_or_b64 s[2:3], s[0:1], s[2:3]
	v_cndmask_b32_e64 v0, 0, 1, s[2:3]
	s_mov_b64 s[24:25], 0
	v_cmp_ne_u32_e64 s[0:1], 1, v0
	s_andn2_b64 vcc, exec, s[2:3]
	s_mov_b64 s[16:17], 0
	s_cbranch_vccnz .LBB69_7
; %bb.6:
	s_add_u32 s2, s12, s28
	s_addc_u32 s3, s13, s29
	s_load_dwordx2 s[2:3], s[2:3], 0x0
	s_lshl_b64 s[12:13], s[14:15], 4
	s_waitcnt lgkmcnt(0)
	s_add_u32 s16, s2, s12
	s_addc_u32 s17, s3, s13
.LBB69_7:
	v_cmp_neq_f64_e64 s[2:3], s[8:9], 0
	v_cmp_neq_f64_e64 s[12:13], s[10:11], 0
	s_or_b64 s[12:13], s[2:3], s[12:13]
	v_cndmask_b32_e64 v0, 0, 1, s[12:13]
	v_cmp_ne_u32_e64 s[2:3], 1, v0
	s_andn2_b64 vcc, exec, s[12:13]
	s_cbranch_vccnz .LBB69_9
; %bb.8:
	s_add_u32 s12, s26, s28
	s_load_dwordx2 s[4:5], s[4:5], 0x38
	s_addc_u32 s13, s27, s29
	s_load_dwordx2 s[12:13], s[12:13], 0x0
	s_waitcnt lgkmcnt(0)
	s_lshl_b64 s[4:5], s[4:5], 4
	s_add_u32 s24, s12, s4
	s_addc_u32 s25, s13, s5
.LBB69_9:
	v_pk_mov_b32 v[2:3], 0, 0
	s_and_b64 vcc, exec, s[2:3]
	v_pk_mov_b32 v[6:7], v[2:3], v[2:3] op_sel:[0,1]
	v_pk_mov_b32 v[0:1], v[2:3], v[2:3] op_sel:[0,1]
	s_cbranch_vccnz .LBB69_11
; %bb.10:
	v_lshlrev_b64 v[0:1], 4, v[4:5]
	v_mov_b32_e32 v6, s25
	v_add_co_u32_e32 v0, vcc, s24, v0
	v_addc_co_u32_e32 v1, vcc, v6, v1, vcc
	flat_load_dwordx4 v[8:11], v[0:1]
	s_waitcnt vmcnt(0) lgkmcnt(0)
	v_mul_f64 v[0:1], s[10:11], v[10:11]
	v_mul_f64 v[6:7], s[8:9], v[10:11]
	v_fma_f64 v[0:1], s[8:9], v[8:9], -v[0:1]
	v_fmac_f64_e32 v[6:7], s[10:11], v[8:9]
.LBB69_11:
	s_and_b64 vcc, exec, s[0:1]
	v_pk_mov_b32 v[8:9], v[2:3], v[2:3] op_sel:[0,1]
	s_cbranch_vccnz .LBB69_13
; %bb.12:
	v_lshlrev_b64 v[2:3], 4, v[4:5]
	v_mov_b32_e32 v8, s17
	v_add_co_u32_e32 v2, vcc, s16, v2
	v_addc_co_u32_e32 v3, vcc, v8, v3, vcc
	flat_load_dwordx4 v[10:13], v[2:3]
	s_waitcnt vmcnt(0) lgkmcnt(0)
	v_mul_f64 v[8:9], s[22:23], v[12:13]
	v_mul_f64 v[2:3], s[20:21], v[12:13]
	v_fma_f64 v[8:9], s[20:21], v[10:11], -v[8:9]
	v_fmac_f64_e32 v[2:3], s[22:23], v[10:11]
.LBB69_13:
	v_add_f64 v[0:1], v[0:1], v[8:9]
	v_add_f64 v[2:3], v[6:7], v[2:3]
.LBB69_14:
	s_lshl_b64 s[0:1], s[18:19], 4
	s_waitcnt lgkmcnt(0)
	s_add_u32 s0, s6, s0
	s_addc_u32 s1, s7, s1
	v_lshlrev_b64 v[4:5], 4, v[4:5]
	v_mov_b32_e32 v6, s1
	v_add_co_u32_e32 v4, vcc, s0, v4
	v_addc_co_u32_e32 v5, vcc, v6, v5, vcc
	global_store_dwordx4 v[4:5], v[0:3], off
.LBB69_15:
	s_endpgm
	.section	.rodata,"a",@progbits
	.p2align	6, 0x0
	.amdhsa_kernel _ZL22rocblas_geam_1D_deviceILi256EPK19rocblas_complex_numIdEPKS3_PKPS1_EvmT0_T1_llS9_SA_llT2_lli
		.amdhsa_group_segment_fixed_size 0
		.amdhsa_private_segment_fixed_size 0
		.amdhsa_kernarg_size 360
		.amdhsa_user_sgpr_count 6
		.amdhsa_user_sgpr_private_segment_buffer 1
		.amdhsa_user_sgpr_dispatch_ptr 0
		.amdhsa_user_sgpr_queue_ptr 0
		.amdhsa_user_sgpr_kernarg_segment_ptr 1
		.amdhsa_user_sgpr_dispatch_id 0
		.amdhsa_user_sgpr_flat_scratch_init 0
		.amdhsa_user_sgpr_kernarg_preload_length 0
		.amdhsa_user_sgpr_kernarg_preload_offset 0
		.amdhsa_user_sgpr_private_segment_size 0
		.amdhsa_uses_dynamic_stack 0
		.amdhsa_system_sgpr_private_segment_wavefront_offset 0
		.amdhsa_system_sgpr_workgroup_id_x 1
		.amdhsa_system_sgpr_workgroup_id_y 0
		.amdhsa_system_sgpr_workgroup_id_z 1
		.amdhsa_system_sgpr_workgroup_info 0
		.amdhsa_system_vgpr_workitem_id 0
		.amdhsa_next_free_vgpr 14
		.amdhsa_next_free_sgpr 30
		.amdhsa_accum_offset 16
		.amdhsa_reserve_vcc 1
		.amdhsa_reserve_flat_scratch 0
		.amdhsa_float_round_mode_32 0
		.amdhsa_float_round_mode_16_64 0
		.amdhsa_float_denorm_mode_32 3
		.amdhsa_float_denorm_mode_16_64 3
		.amdhsa_dx10_clamp 1
		.amdhsa_ieee_mode 1
		.amdhsa_fp16_overflow 0
		.amdhsa_tg_split 0
		.amdhsa_exception_fp_ieee_invalid_op 0
		.amdhsa_exception_fp_denorm_src 0
		.amdhsa_exception_fp_ieee_div_zero 0
		.amdhsa_exception_fp_ieee_overflow 0
		.amdhsa_exception_fp_ieee_underflow 0
		.amdhsa_exception_fp_ieee_inexact 0
		.amdhsa_exception_int_div_zero 0
	.end_amdhsa_kernel
	.section	.text._ZL22rocblas_geam_1D_deviceILi256EPK19rocblas_complex_numIdEPKS3_PKPS1_EvmT0_T1_llS9_SA_llT2_lli,"axG",@progbits,_ZL22rocblas_geam_1D_deviceILi256EPK19rocblas_complex_numIdEPKS3_PKPS1_EvmT0_T1_llS9_SA_llT2_lli,comdat
.Lfunc_end69:
	.size	_ZL22rocblas_geam_1D_deviceILi256EPK19rocblas_complex_numIdEPKS3_PKPS1_EvmT0_T1_llS9_SA_llT2_lli, .Lfunc_end69-_ZL22rocblas_geam_1D_deviceILi256EPK19rocblas_complex_numIdEPKS3_PKPS1_EvmT0_T1_llS9_SA_llT2_lli
                                        ; -- End function
	.section	.AMDGPU.csdata,"",@progbits
; Kernel info:
; codeLenInByte = 608
; NumSgprs: 34
; NumVgprs: 14
; NumAgprs: 0
; TotalNumVgprs: 14
; ScratchSize: 0
; MemoryBound: 0
; FloatMode: 240
; IeeeMode: 1
; LDSByteSize: 0 bytes/workgroup (compile time only)
; SGPRBlocks: 4
; VGPRBlocks: 1
; NumSGPRsForWavesPerEU: 34
; NumVGPRsForWavesPerEU: 14
; AccumOffset: 16
; Occupancy: 8
; WaveLimiterHint : 1
; COMPUTE_PGM_RSRC2:SCRATCH_EN: 0
; COMPUTE_PGM_RSRC2:USER_SGPR: 6
; COMPUTE_PGM_RSRC2:TRAP_HANDLER: 0
; COMPUTE_PGM_RSRC2:TGID_X_EN: 1
; COMPUTE_PGM_RSRC2:TGID_Y_EN: 0
; COMPUTE_PGM_RSRC2:TGID_Z_EN: 1
; COMPUTE_PGM_RSRC2:TIDIG_COMP_CNT: 0
; COMPUTE_PGM_RSRC3_GFX90A:ACCUM_OFFSET: 3
; COMPUTE_PGM_RSRC3_GFX90A:TG_SPLIT: 0
	.section	.text._ZL19rocblas_geam_deviceILi16ELi16E19rocblas_complex_numIdEPKPKS1_PKPS1_Ev18rocblas_operation_S9_iiT1_T2_lllSA_SB_lllT3_llli,"axG",@progbits,_ZL19rocblas_geam_deviceILi16ELi16E19rocblas_complex_numIdEPKPKS1_PKPS1_Ev18rocblas_operation_S9_iiT1_T2_lllSA_SB_lllT3_llli,comdat
	.globl	_ZL19rocblas_geam_deviceILi16ELi16E19rocblas_complex_numIdEPKPKS1_PKPS1_Ev18rocblas_operation_S9_iiT1_T2_lllSA_SB_lllT3_llli ; -- Begin function _ZL19rocblas_geam_deviceILi16ELi16E19rocblas_complex_numIdEPKPKS1_PKPS1_Ev18rocblas_operation_S9_iiT1_T2_lllSA_SB_lllT3_llli
	.p2align	8
	.type	_ZL19rocblas_geam_deviceILi16ELi16E19rocblas_complex_numIdEPKPKS1_PKPS1_Ev18rocblas_operation_S9_iiT1_T2_lllSA_SB_lllT3_llli,@function
_ZL19rocblas_geam_deviceILi16ELi16E19rocblas_complex_numIdEPKPKS1_PKPS1_Ev18rocblas_operation_S9_iiT1_T2_lllSA_SB_lllT3_llli: ; @_ZL19rocblas_geam_deviceILi16ELi16E19rocblas_complex_numIdEPKPKS1_PKPS1_Ev18rocblas_operation_S9_iiT1_T2_lllSA_SB_lllT3_llli
; %bb.0:
	s_load_dwordx4 s[24:27], s[4:5], 0x0
	s_mov_b32 s2, s7
	v_and_b32_e32 v2, 0x3ff, v0
	v_bfe_u32 v0, v0, 10, 10
	s_waitcnt lgkmcnt(0)
	s_add_i32 s0, s26, -1
	s_ashr_i32 s1, s0, 31
	s_lshr_b32 s1, s1, 28
	s_add_i32 s0, s0, s1
	s_ashr_i32 s0, s0, 4
	s_add_i32 s1, s0, 1
	v_cvt_f32_u32_e32 v1, s1
	s_not_b32 s0, s0
	v_rcp_iflag_f32_e32 v1, v1
	v_mul_f32_e32 v1, 0x4f7ffffe, v1
	v_cvt_u32_f32_e32 v1, v1
	v_readfirstlane_b32 s3, v1
	s_mul_i32 s0, s0, s3
	s_mul_hi_u32 s0, s3, s0
	s_add_i32 s3, s3, s0
	s_mul_hi_u32 s0, s6, s3
	s_mul_i32 s3, s0, s1
	s_sub_i32 s3, s6, s3
	s_add_i32 s7, s0, 1
	s_sub_i32 s8, s3, s1
	s_cmp_ge_u32 s3, s1
	s_cselect_b32 s0, s7, s0
	s_cselect_b32 s3, s8, s3
	s_add_i32 s7, s0, 1
	s_cmp_ge_u32 s3, s1
	s_cselect_b32 s0, s7, s0
	s_mul_i32 s1, s0, s1
	v_lshl_add_u32 v10, s0, 4, v0
	s_sub_i32 s0, s6, s1
	v_lshl_add_u32 v8, s0, 4, v2
	v_cmp_gt_i32_e32 vcc, s26, v8
	v_cmp_gt_i32_e64 s[0:1], s27, v10
	s_and_b64 s[0:1], vcc, s[0:1]
	s_and_saveexec_b64 s[6:7], s[0:1]
	s_cbranch_execz .LBB70_12
; %bb.1:
	s_load_dwordx8 s[8:15], s[4:5], 0x10
	s_load_dwordx2 s[26:27], s[4:5], 0x30
	s_load_dwordx8 s[16:23], s[4:5], 0x40
	s_load_dwordx2 s[6:7], s[4:5], 0x60
	s_mov_b64 s[0:1], 0
	s_waitcnt lgkmcnt(0)
	v_cmp_neq_f64_e64 s[28:29], s[8:9], 0
	v_cmp_neq_f64_e64 s[30:31], s[10:11], 0
	s_or_b64 s[28:29], s[28:29], s[30:31]
	s_and_b64 vcc, exec, s[28:29]
	s_cbranch_vccnz .LBB70_3
; %bb.2:
	s_mov_b32 s3, 0
	s_mov_b64 s[30:31], 0
	s_andn2_b64 vcc, exec, s[0:1]
	s_cbranch_vccz .LBB70_4
	s_branch .LBB70_5
.LBB70_3:
                                        ; implicit-def: $sgpr30_sgpr31
.LBB70_4:
	s_mov_b32 s3, 0
	s_lshl_b64 s[0:1], s[2:3], 3
	s_add_u32 s0, s12, s0
	s_addc_u32 s1, s13, s1
	s_load_dwordx2 s[0:1], s[0:1], 0x0
	s_lshl_b64 s[12:13], s[14:15], 4
	s_waitcnt lgkmcnt(0)
	s_add_u32 s30, s0, s12
	s_addc_u32 s31, s1, s13
.LBB70_5:
	v_cmp_neq_f64_e64 s[0:1], s[16:17], 0
	v_cmp_neq_f64_e64 s[12:13], s[18:19], 0
	s_or_b64 s[12:13], s[0:1], s[12:13]
	v_cndmask_b32_e64 v0, 0, 1, s[12:13]
	v_cmp_ne_u32_e64 s[0:1], 1, v0
	s_andn2_b64 vcc, exec, s[12:13]
	s_mov_b64 s[34:35], 0
	s_cbranch_vccnz .LBB70_7
; %bb.6:
	s_lshl_b64 s[12:13], s[2:3], 3
	s_add_u32 s12, s20, s12
	s_addc_u32 s13, s21, s13
	s_load_dwordx2 s[12:13], s[12:13], 0x0
	s_lshl_b64 s[14:15], s[22:23], 4
	s_waitcnt lgkmcnt(0)
	s_add_u32 s34, s12, s14
	s_addc_u32 s35, s13, s15
.LBB70_7:
	s_load_dwordx4 s[12:15], s[4:5], 0x70
	s_load_dwordx2 s[20:21], s[4:5], 0x80
	s_lshl_b64 s[2:3], s[2:3], 3
	v_pk_mov_b32 v[4:5], 0, 0
	v_ashrrev_i32_e32 v9, 31, v8
	s_waitcnt lgkmcnt(0)
	s_add_u32 s2, s12, s2
	s_addc_u32 s3, s13, s3
	s_load_dwordx2 s[2:3], s[2:3], 0x0
	v_ashrrev_i32_e32 v11, 31, v10
	s_andn2_b64 vcc, exec, s[28:29]
	v_pk_mov_b32 v[0:1], v[4:5], v[4:5] op_sel:[0,1]
	v_pk_mov_b32 v[2:3], v[4:5], v[4:5] op_sel:[0,1]
	s_cbranch_vccnz .LBB70_9
; %bb.8:
	s_cmpk_eq_i32 s24, 0x6f
	s_cselect_b64 vcc, -1, 0
	v_cndmask_b32_e32 v2, v9, v11, vcc
	v_cndmask_b32_e32 v3, v8, v10, vcc
	;; [unrolled: 1-line block ×4, first 2 shown]
	v_mad_u64_u32 v[0:1], s[4:5], v3, s26, v[0:1]
	v_mul_lo_u32 v3, v3, s27
	v_mul_lo_u32 v2, v2, s26
	v_add3_u32 v1, v2, v1, v3
	v_lshlrev_b64 v[0:1], 4, v[0:1]
	v_mov_b32_e32 v2, s31
	v_add_co_u32_e32 v0, vcc, s30, v0
	v_addc_co_u32_e32 v1, vcc, v2, v1, vcc
	flat_load_dwordx4 v[0:3], v[0:1]
.LBB70_9:
	s_and_b64 vcc, exec, s[0:1]
	v_pk_mov_b32 v[6:7], v[4:5], v[4:5] op_sel:[0,1]
	s_cbranch_vccnz .LBB70_11
; %bb.10:
	s_cmpk_eq_i32 s25, 0x6f
	s_cselect_b64 vcc, -1, 0
	v_cndmask_b32_e32 v6, v9, v11, vcc
	v_cndmask_b32_e32 v7, v8, v10, vcc
	;; [unrolled: 1-line block ×4, first 2 shown]
	v_mad_u64_u32 v[4:5], s[0:1], v7, s6, v[4:5]
	v_mul_lo_u32 v7, v7, s7
	v_mul_lo_u32 v6, v6, s6
	v_add3_u32 v5, v6, v5, v7
	v_lshlrev_b64 v[4:5], 4, v[4:5]
	v_mov_b32_e32 v6, s35
	v_add_co_u32_e32 v4, vcc, s34, v4
	v_addc_co_u32_e32 v5, vcc, v6, v5, vcc
	flat_load_dwordx4 v[4:7], v[4:5]
.LBB70_11:
	s_lshl_b64 s[0:1], s[14:15], 4
	s_waitcnt lgkmcnt(0)
	s_add_u32 s2, s2, s0
	s_addc_u32 s3, s3, s1
	v_mul_lo_u32 v12, v11, s20
	v_mul_lo_u32 v13, v10, s21
	v_mad_u64_u32 v[10:11], s[0:1], v10, s20, 0
	s_cmpk_eq_i32 s24, 0x71
	v_add3_u32 v11, v11, v13, v12
	s_waitcnt vmcnt(0)
	v_xor_b32_e32 v12, 0x80000000, v3
	s_cselect_b64 vcc, -1, 0
	s_cmpk_eq_i32 s25, 0x71
	v_cndmask_b32_e32 v3, v3, v12, vcc
	v_cndmask_b32_e32 v2, v2, v2, vcc
	v_xor_b32_e32 v12, 0x80000000, v7
	s_cselect_b64 vcc, -1, 0
	v_cndmask_b32_e32 v7, v7, v12, vcc
	v_cndmask_b32_e32 v6, v6, v6, vcc
	v_mul_f64 v[12:13], s[18:19], v[6:7]
	v_mul_f64 v[6:7], s[16:17], v[6:7]
	v_fma_f64 v[12:13], s[16:17], v[4:5], -v[12:13]
	v_fmac_f64_e32 v[6:7], s[18:19], v[4:5]
	v_mul_f64 v[4:5], s[10:11], v[2:3]
	v_fma_f64 v[4:5], s[8:9], v[0:1], -v[4:5]
	v_mul_f64 v[2:3], s[8:9], v[2:3]
	v_fmac_f64_e32 v[2:3], s[10:11], v[0:1]
	v_add_f64 v[0:1], v[4:5], v[12:13]
	v_lshlrev_b64 v[4:5], 4, v[10:11]
	v_add_f64 v[2:3], v[2:3], v[6:7]
	v_mov_b32_e32 v6, s3
	v_add_co_u32_e32 v7, vcc, s2, v4
	v_addc_co_u32_e32 v6, vcc, v6, v5, vcc
	v_lshlrev_b64 v[4:5], 4, v[8:9]
	v_add_co_u32_e32 v4, vcc, v7, v4
	v_addc_co_u32_e32 v5, vcc, v6, v5, vcc
	global_store_dwordx4 v[4:5], v[0:3], off
.LBB70_12:
	s_endpgm
	.section	.rodata,"a",@progbits
	.p2align	6, 0x0
	.amdhsa_kernel _ZL19rocblas_geam_deviceILi16ELi16E19rocblas_complex_numIdEPKPKS1_PKPS1_Ev18rocblas_operation_S9_iiT1_T2_lllSA_SB_lllT3_llli
		.amdhsa_group_segment_fixed_size 0
		.amdhsa_private_segment_fixed_size 0
		.amdhsa_kernarg_size 148
		.amdhsa_user_sgpr_count 6
		.amdhsa_user_sgpr_private_segment_buffer 1
		.amdhsa_user_sgpr_dispatch_ptr 0
		.amdhsa_user_sgpr_queue_ptr 0
		.amdhsa_user_sgpr_kernarg_segment_ptr 1
		.amdhsa_user_sgpr_dispatch_id 0
		.amdhsa_user_sgpr_flat_scratch_init 0
		.amdhsa_user_sgpr_kernarg_preload_length 0
		.amdhsa_user_sgpr_kernarg_preload_offset 0
		.amdhsa_user_sgpr_private_segment_size 0
		.amdhsa_uses_dynamic_stack 0
		.amdhsa_system_sgpr_private_segment_wavefront_offset 0
		.amdhsa_system_sgpr_workgroup_id_x 1
		.amdhsa_system_sgpr_workgroup_id_y 0
		.amdhsa_system_sgpr_workgroup_id_z 1
		.amdhsa_system_sgpr_workgroup_info 0
		.amdhsa_system_vgpr_workitem_id 1
		.amdhsa_next_free_vgpr 14
		.amdhsa_next_free_sgpr 36
		.amdhsa_accum_offset 16
		.amdhsa_reserve_vcc 1
		.amdhsa_reserve_flat_scratch 0
		.amdhsa_float_round_mode_32 0
		.amdhsa_float_round_mode_16_64 0
		.amdhsa_float_denorm_mode_32 3
		.amdhsa_float_denorm_mode_16_64 3
		.amdhsa_dx10_clamp 1
		.amdhsa_ieee_mode 1
		.amdhsa_fp16_overflow 0
		.amdhsa_tg_split 0
		.amdhsa_exception_fp_ieee_invalid_op 0
		.amdhsa_exception_fp_denorm_src 0
		.amdhsa_exception_fp_ieee_div_zero 0
		.amdhsa_exception_fp_ieee_overflow 0
		.amdhsa_exception_fp_ieee_underflow 0
		.amdhsa_exception_fp_ieee_inexact 0
		.amdhsa_exception_int_div_zero 0
	.end_amdhsa_kernel
	.section	.text._ZL19rocblas_geam_deviceILi16ELi16E19rocblas_complex_numIdEPKPKS1_PKPS1_Ev18rocblas_operation_S9_iiT1_T2_lllSA_SB_lllT3_llli,"axG",@progbits,_ZL19rocblas_geam_deviceILi16ELi16E19rocblas_complex_numIdEPKPKS1_PKPS1_Ev18rocblas_operation_S9_iiT1_T2_lllSA_SB_lllT3_llli,comdat
.Lfunc_end70:
	.size	_ZL19rocblas_geam_deviceILi16ELi16E19rocblas_complex_numIdEPKPKS1_PKPS1_Ev18rocblas_operation_S9_iiT1_T2_lllSA_SB_lllT3_llli, .Lfunc_end70-_ZL19rocblas_geam_deviceILi16ELi16E19rocblas_complex_numIdEPKPKS1_PKPS1_Ev18rocblas_operation_S9_iiT1_T2_lllSA_SB_lllT3_llli
                                        ; -- End function
	.section	.AMDGPU.csdata,"",@progbits
; Kernel info:
; codeLenInByte = 884
; NumSgprs: 40
; NumVgprs: 14
; NumAgprs: 0
; TotalNumVgprs: 14
; ScratchSize: 0
; MemoryBound: 0
; FloatMode: 240
; IeeeMode: 1
; LDSByteSize: 0 bytes/workgroup (compile time only)
; SGPRBlocks: 4
; VGPRBlocks: 1
; NumSGPRsForWavesPerEU: 40
; NumVGPRsForWavesPerEU: 14
; AccumOffset: 16
; Occupancy: 8
; WaveLimiterHint : 1
; COMPUTE_PGM_RSRC2:SCRATCH_EN: 0
; COMPUTE_PGM_RSRC2:USER_SGPR: 6
; COMPUTE_PGM_RSRC2:TRAP_HANDLER: 0
; COMPUTE_PGM_RSRC2:TGID_X_EN: 1
; COMPUTE_PGM_RSRC2:TGID_Y_EN: 0
; COMPUTE_PGM_RSRC2:TGID_Z_EN: 1
; COMPUTE_PGM_RSRC2:TIDIG_COMP_CNT: 1
; COMPUTE_PGM_RSRC3_GFX90A:ACCUM_OFFSET: 3
; COMPUTE_PGM_RSRC3_GFX90A:TG_SPLIT: 0
	.section	.text._ZL19rocblas_geam_deviceILi16ELi16EPK19rocblas_complex_numIdEPKS3_PKPS1_Ev18rocblas_operation_S9_iiT1_T2_lllSA_SB_lllT3_llli,"axG",@progbits,_ZL19rocblas_geam_deviceILi16ELi16EPK19rocblas_complex_numIdEPKS3_PKPS1_Ev18rocblas_operation_S9_iiT1_T2_lllSA_SB_lllT3_llli,comdat
	.globl	_ZL19rocblas_geam_deviceILi16ELi16EPK19rocblas_complex_numIdEPKS3_PKPS1_Ev18rocblas_operation_S9_iiT1_T2_lllSA_SB_lllT3_llli ; -- Begin function _ZL19rocblas_geam_deviceILi16ELi16EPK19rocblas_complex_numIdEPKS3_PKPS1_Ev18rocblas_operation_S9_iiT1_T2_lllSA_SB_lllT3_llli
	.p2align	8
	.type	_ZL19rocblas_geam_deviceILi16ELi16EPK19rocblas_complex_numIdEPKS3_PKPS1_Ev18rocblas_operation_S9_iiT1_T2_lllSA_SB_lllT3_llli,@function
_ZL19rocblas_geam_deviceILi16ELi16EPK19rocblas_complex_numIdEPKS3_PKPS1_Ev18rocblas_operation_S9_iiT1_T2_lllSA_SB_lllT3_llli: ; @_ZL19rocblas_geam_deviceILi16ELi16EPK19rocblas_complex_numIdEPKS3_PKPS1_Ev18rocblas_operation_S9_iiT1_T2_lllSA_SB_lllT3_llli
; %bb.0:
	s_load_dwordx4 s[24:27], s[4:5], 0x0
	s_mov_b32 s2, s7
	v_and_b32_e32 v2, 0x3ff, v0
	v_bfe_u32 v0, v0, 10, 10
	s_waitcnt lgkmcnt(0)
	s_add_i32 s0, s26, -1
	s_ashr_i32 s1, s0, 31
	s_lshr_b32 s1, s1, 28
	s_add_i32 s0, s0, s1
	s_ashr_i32 s0, s0, 4
	s_add_i32 s1, s0, 1
	v_cvt_f32_u32_e32 v1, s1
	s_not_b32 s0, s0
	v_rcp_iflag_f32_e32 v1, v1
	v_mul_f32_e32 v1, 0x4f7ffffe, v1
	v_cvt_u32_f32_e32 v1, v1
	v_readfirstlane_b32 s3, v1
	s_mul_i32 s0, s0, s3
	s_mul_hi_u32 s0, s3, s0
	s_add_i32 s3, s3, s0
	s_mul_hi_u32 s0, s6, s3
	s_mul_i32 s3, s0, s1
	s_sub_i32 s3, s6, s3
	s_add_i32 s7, s0, 1
	s_sub_i32 s8, s3, s1
	s_cmp_ge_u32 s3, s1
	s_cselect_b32 s0, s7, s0
	s_cselect_b32 s3, s8, s3
	s_add_i32 s7, s0, 1
	s_cmp_ge_u32 s3, s1
	s_cselect_b32 s0, s7, s0
	s_mul_i32 s1, s0, s1
	v_lshl_add_u32 v10, s0, 4, v0
	s_sub_i32 s0, s6, s1
	v_lshl_add_u32 v8, s0, 4, v2
	v_cmp_gt_i32_e32 vcc, s26, v8
	v_cmp_gt_i32_e64 s[0:1], s27, v10
	s_and_b64 s[0:1], vcc, s[0:1]
	s_and_saveexec_b64 s[6:7], s[0:1]
	s_cbranch_execz .LBB71_12
; %bb.1:
	s_load_dwordx8 s[16:23], s[4:5], 0x10
	s_mov_b64 s[0:1], 0
	s_waitcnt lgkmcnt(0)
	s_load_dwordx4 s[28:31], s[16:17], 0x0
	s_load_dwordx8 s[8:15], s[4:5], 0x38
	s_waitcnt lgkmcnt(0)
	v_cmp_neq_f64_e64 s[6:7], s[28:29], 0
	v_cmp_neq_f64_e64 s[16:17], s[30:31], 0
	s_or_b64 s[6:7], s[6:7], s[16:17]
	s_and_b64 vcc, exec, s[6:7]
	s_cbranch_vccnz .LBB71_3
; %bb.2:
	s_mov_b32 s3, 0
	s_mov_b64 s[16:17], 0
	s_load_dwordx4 s[36:39], s[8:9], 0x0
	s_andn2_b64 vcc, exec, s[0:1]
	s_cbranch_vccz .LBB71_4
	s_branch .LBB71_5
.LBB71_3:
                                        ; implicit-def: $sgpr16_sgpr17
	s_load_dwordx4 s[36:39], s[8:9], 0x0
.LBB71_4:
	s_mov_b32 s3, 0
	s_lshl_b64 s[0:1], s[2:3], 3
	s_add_u32 s0, s18, s0
	s_addc_u32 s1, s19, s1
	s_load_dwordx2 s[0:1], s[0:1], 0x0
	s_lshl_b64 s[8:9], s[20:21], 4
	s_waitcnt lgkmcnt(0)
	s_add_u32 s16, s0, s8
	s_addc_u32 s17, s1, s9
.LBB71_5:
	s_waitcnt lgkmcnt(0)
	v_cmp_neq_f64_e64 s[0:1], s[36:37], 0
	v_cmp_neq_f64_e64 s[8:9], s[38:39], 0
	s_or_b64 s[8:9], s[0:1], s[8:9]
	v_cndmask_b32_e64 v0, 0, 1, s[8:9]
	v_cmp_ne_u32_e64 s[0:1], 1, v0
	s_andn2_b64 vcc, exec, s[8:9]
	s_mov_b64 s[18:19], 0
	s_cbranch_vccnz .LBB71_7
; %bb.6:
	s_lshl_b64 s[8:9], s[2:3], 3
	s_add_u32 s8, s10, s8
	s_addc_u32 s9, s11, s9
	s_load_dwordx2 s[8:9], s[8:9], 0x0
	s_lshl_b64 s[10:11], s[12:13], 4
	s_waitcnt lgkmcnt(0)
	s_add_u32 s18, s8, s10
	s_addc_u32 s19, s9, s11
.LBB71_7:
	s_load_dwordx4 s[8:11], s[4:5], 0x60
	s_load_dwordx2 s[12:13], s[4:5], 0x70
	s_lshl_b64 s[2:3], s[2:3], 3
	v_pk_mov_b32 v[4:5], 0, 0
	v_ashrrev_i32_e32 v9, 31, v8
	s_waitcnt lgkmcnt(0)
	s_add_u32 s2, s8, s2
	s_addc_u32 s3, s9, s3
	s_load_dwordx2 s[2:3], s[2:3], 0x0
	v_ashrrev_i32_e32 v11, 31, v10
	s_andn2_b64 vcc, exec, s[6:7]
	v_pk_mov_b32 v[0:1], v[4:5], v[4:5] op_sel:[0,1]
	v_pk_mov_b32 v[2:3], v[4:5], v[4:5] op_sel:[0,1]
	s_cbranch_vccnz .LBB71_9
; %bb.8:
	s_cmpk_eq_i32 s24, 0x6f
	s_cselect_b64 vcc, -1, 0
	v_cndmask_b32_e32 v2, v9, v11, vcc
	v_cndmask_b32_e32 v3, v8, v10, vcc
	;; [unrolled: 1-line block ×4, first 2 shown]
	v_mad_u64_u32 v[0:1], s[4:5], v3, s22, v[0:1]
	v_mul_lo_u32 v3, v3, s23
	v_mul_lo_u32 v2, v2, s22
	v_add3_u32 v1, v2, v1, v3
	v_lshlrev_b64 v[0:1], 4, v[0:1]
	v_mov_b32_e32 v2, s17
	v_add_co_u32_e32 v0, vcc, s16, v0
	v_addc_co_u32_e32 v1, vcc, v2, v1, vcc
	flat_load_dwordx4 v[0:3], v[0:1]
.LBB71_9:
	s_and_b64 vcc, exec, s[0:1]
	v_pk_mov_b32 v[6:7], v[4:5], v[4:5] op_sel:[0,1]
	s_cbranch_vccnz .LBB71_11
; %bb.10:
	s_cmpk_eq_i32 s25, 0x6f
	s_cselect_b64 vcc, -1, 0
	v_cndmask_b32_e32 v6, v9, v11, vcc
	v_cndmask_b32_e32 v7, v8, v10, vcc
	;; [unrolled: 1-line block ×4, first 2 shown]
	v_mad_u64_u32 v[4:5], s[0:1], v7, s14, v[4:5]
	v_mul_lo_u32 v7, v7, s15
	v_mul_lo_u32 v6, v6, s14
	v_add3_u32 v5, v6, v5, v7
	v_lshlrev_b64 v[4:5], 4, v[4:5]
	v_mov_b32_e32 v6, s19
	v_add_co_u32_e32 v4, vcc, s18, v4
	v_addc_co_u32_e32 v5, vcc, v6, v5, vcc
	flat_load_dwordx4 v[4:7], v[4:5]
.LBB71_11:
	s_lshl_b64 s[0:1], s[10:11], 4
	s_waitcnt lgkmcnt(0)
	s_add_u32 s2, s2, s0
	s_addc_u32 s3, s3, s1
	v_mul_lo_u32 v12, v11, s12
	v_mul_lo_u32 v13, v10, s13
	v_mad_u64_u32 v[10:11], s[0:1], v10, s12, 0
	s_cmpk_eq_i32 s24, 0x71
	v_add3_u32 v11, v11, v13, v12
	s_waitcnt vmcnt(0)
	v_xor_b32_e32 v12, 0x80000000, v3
	s_cselect_b64 vcc, -1, 0
	s_cmpk_eq_i32 s25, 0x71
	v_cndmask_b32_e32 v3, v3, v12, vcc
	v_cndmask_b32_e32 v2, v2, v2, vcc
	v_xor_b32_e32 v12, 0x80000000, v7
	s_cselect_b64 vcc, -1, 0
	v_cndmask_b32_e32 v7, v7, v12, vcc
	v_cndmask_b32_e32 v6, v6, v6, vcc
	v_mul_f64 v[12:13], s[38:39], v[6:7]
	v_mul_f64 v[6:7], s[36:37], v[6:7]
	v_fma_f64 v[12:13], s[36:37], v[4:5], -v[12:13]
	v_fmac_f64_e32 v[6:7], s[38:39], v[4:5]
	v_mul_f64 v[4:5], s[30:31], v[2:3]
	v_fma_f64 v[4:5], s[28:29], v[0:1], -v[4:5]
	v_mul_f64 v[2:3], s[28:29], v[2:3]
	v_fmac_f64_e32 v[2:3], s[30:31], v[0:1]
	v_add_f64 v[0:1], v[4:5], v[12:13]
	v_lshlrev_b64 v[4:5], 4, v[10:11]
	v_add_f64 v[2:3], v[2:3], v[6:7]
	v_mov_b32_e32 v6, s3
	v_add_co_u32_e32 v7, vcc, s2, v4
	v_addc_co_u32_e32 v6, vcc, v6, v5, vcc
	v_lshlrev_b64 v[4:5], 4, v[8:9]
	v_add_co_u32_e32 v4, vcc, v7, v4
	v_addc_co_u32_e32 v5, vcc, v6, v5, vcc
	global_store_dwordx4 v[4:5], v[0:3], off
.LBB71_12:
	s_endpgm
	.section	.rodata,"a",@progbits
	.p2align	6, 0x0
	.amdhsa_kernel _ZL19rocblas_geam_deviceILi16ELi16EPK19rocblas_complex_numIdEPKS3_PKPS1_Ev18rocblas_operation_S9_iiT1_T2_lllSA_SB_lllT3_llli
		.amdhsa_group_segment_fixed_size 0
		.amdhsa_private_segment_fixed_size 0
		.amdhsa_kernarg_size 132
		.amdhsa_user_sgpr_count 6
		.amdhsa_user_sgpr_private_segment_buffer 1
		.amdhsa_user_sgpr_dispatch_ptr 0
		.amdhsa_user_sgpr_queue_ptr 0
		.amdhsa_user_sgpr_kernarg_segment_ptr 1
		.amdhsa_user_sgpr_dispatch_id 0
		.amdhsa_user_sgpr_flat_scratch_init 0
		.amdhsa_user_sgpr_kernarg_preload_length 0
		.amdhsa_user_sgpr_kernarg_preload_offset 0
		.amdhsa_user_sgpr_private_segment_size 0
		.amdhsa_uses_dynamic_stack 0
		.amdhsa_system_sgpr_private_segment_wavefront_offset 0
		.amdhsa_system_sgpr_workgroup_id_x 1
		.amdhsa_system_sgpr_workgroup_id_y 0
		.amdhsa_system_sgpr_workgroup_id_z 1
		.amdhsa_system_sgpr_workgroup_info 0
		.amdhsa_system_vgpr_workitem_id 1
		.amdhsa_next_free_vgpr 14
		.amdhsa_next_free_sgpr 40
		.amdhsa_accum_offset 16
		.amdhsa_reserve_vcc 1
		.amdhsa_reserve_flat_scratch 0
		.amdhsa_float_round_mode_32 0
		.amdhsa_float_round_mode_16_64 0
		.amdhsa_float_denorm_mode_32 3
		.amdhsa_float_denorm_mode_16_64 3
		.amdhsa_dx10_clamp 1
		.amdhsa_ieee_mode 1
		.amdhsa_fp16_overflow 0
		.amdhsa_tg_split 0
		.amdhsa_exception_fp_ieee_invalid_op 0
		.amdhsa_exception_fp_denorm_src 0
		.amdhsa_exception_fp_ieee_div_zero 0
		.amdhsa_exception_fp_ieee_overflow 0
		.amdhsa_exception_fp_ieee_underflow 0
		.amdhsa_exception_fp_ieee_inexact 0
		.amdhsa_exception_int_div_zero 0
	.end_amdhsa_kernel
	.section	.text._ZL19rocblas_geam_deviceILi16ELi16EPK19rocblas_complex_numIdEPKS3_PKPS1_Ev18rocblas_operation_S9_iiT1_T2_lllSA_SB_lllT3_llli,"axG",@progbits,_ZL19rocblas_geam_deviceILi16ELi16EPK19rocblas_complex_numIdEPKS3_PKPS1_Ev18rocblas_operation_S9_iiT1_T2_lllSA_SB_lllT3_llli,comdat
.Lfunc_end71:
	.size	_ZL19rocblas_geam_deviceILi16ELi16EPK19rocblas_complex_numIdEPKS3_PKPS1_Ev18rocblas_operation_S9_iiT1_T2_lllSA_SB_lllT3_llli, .Lfunc_end71-_ZL19rocblas_geam_deviceILi16ELi16EPK19rocblas_complex_numIdEPKS3_PKPS1_Ev18rocblas_operation_S9_iiT1_T2_lllSA_SB_lllT3_llli
                                        ; -- End function
	.section	.AMDGPU.csdata,"",@progbits
; Kernel info:
; codeLenInByte = 900
; NumSgprs: 44
; NumVgprs: 14
; NumAgprs: 0
; TotalNumVgprs: 14
; ScratchSize: 0
; MemoryBound: 0
; FloatMode: 240
; IeeeMode: 1
; LDSByteSize: 0 bytes/workgroup (compile time only)
; SGPRBlocks: 5
; VGPRBlocks: 1
; NumSGPRsForWavesPerEU: 44
; NumVGPRsForWavesPerEU: 14
; AccumOffset: 16
; Occupancy: 8
; WaveLimiterHint : 1
; COMPUTE_PGM_RSRC2:SCRATCH_EN: 0
; COMPUTE_PGM_RSRC2:USER_SGPR: 6
; COMPUTE_PGM_RSRC2:TRAP_HANDLER: 0
; COMPUTE_PGM_RSRC2:TGID_X_EN: 1
; COMPUTE_PGM_RSRC2:TGID_Y_EN: 0
; COMPUTE_PGM_RSRC2:TGID_Z_EN: 1
; COMPUTE_PGM_RSRC2:TIDIG_COMP_CNT: 1
; COMPUTE_PGM_RSRC3_GFX90A:ACCUM_OFFSET: 3
; COMPUTE_PGM_RSRC3_GFX90A:TG_SPLIT: 0
	.text
	.p2alignl 6, 3212836864
	.fill 256, 4, 3212836864
	.type	__hip_cuid_355d0ea9abe57cc6,@object ; @__hip_cuid_355d0ea9abe57cc6
	.section	.bss,"aw",@nobits
	.globl	__hip_cuid_355d0ea9abe57cc6
__hip_cuid_355d0ea9abe57cc6:
	.byte	0                               ; 0x0
	.size	__hip_cuid_355d0ea9abe57cc6, 1

	.ident	"AMD clang version 19.0.0git (https://github.com/RadeonOpenCompute/llvm-project roc-6.4.0 25133 c7fe45cf4b819c5991fe208aaa96edf142730f1d)"
	.section	".note.GNU-stack","",@progbits
	.addrsig
	.addrsig_sym __hip_cuid_355d0ea9abe57cc6
	.amdgpu_metadata
---
amdhsa.kernels:
  - .agpr_count:     0
    .args:
      - .offset:         0
        .size:           4
        .value_kind:     by_value
      - .offset:         4
        .size:           4
        .value_kind:     by_value
      - .address_space:  global
        .offset:         8
        .size:           8
        .value_kind:     global_buffer
      - .offset:         16
        .size:           8
        .value_kind:     by_value
      - .offset:         24
        .size:           8
        .value_kind:     by_value
      - .offset:         32
        .size:           8
        .value_kind:     by_value
      - .offset:         40
        .size:           4
        .value_kind:     by_value
    .group_segment_fixed_size: 0
    .kernarg_segment_align: 8
    .kernarg_segment_size: 44
    .language:       OpenCL C
    .language_version:
      - 2
      - 0
    .max_flat_workgroup_size: 256
    .name:           _ZL31rocblas_geam_zero_matrix_deviceILi16ELi16EPfEviiT1_llli
    .private_segment_fixed_size: 0
    .sgpr_count:     20
    .sgpr_spill_count: 0
    .symbol:         _ZL31rocblas_geam_zero_matrix_deviceILi16ELi16EPfEviiT1_llli.kd
    .uniform_work_group_size: 1
    .uses_dynamic_stack: false
    .vgpr_count:     6
    .vgpr_spill_count: 0
    .wavefront_size: 64
  - .agpr_count:     0
    .args:
      - .offset:         0
        .size:           4
        .value_kind:     by_value
      - .offset:         4
        .size:           4
        .value_kind:     by_value
      - .offset:         8
        .size:           4
        .value_kind:     by_value
      - .offset:         12
        .size:           4
        .value_kind:     by_value
      - .offset:         16
        .size:           4
        .value_kind:     by_value
      - .address_space:  global
        .offset:         24
        .size:           8
        .value_kind:     global_buffer
      - .offset:         32
        .size:           8
        .value_kind:     by_value
      - .offset:         40
        .size:           8
        .value_kind:     by_value
      - .offset:         48
        .size:           8
        .value_kind:     by_value
      - .address_space:  global
        .offset:         56
        .size:           8
        .value_kind:     global_buffer
      - .offset:         64
        .size:           8
        .value_kind:     by_value
      - .offset:         72
        .size:           8
        .value_kind:     by_value
      - .offset:         80
        .size:           8
        .value_kind:     by_value
      - .offset:         88
        .size:           4
        .value_kind:     by_value
    .group_segment_fixed_size: 0
    .kernarg_segment_align: 8
    .kernarg_segment_size: 92
    .language:       OpenCL C
    .language_version:
      - 2
      - 0
    .max_flat_workgroup_size: 256
    .name:           _ZL27rocblas_geam_inplace_deviceILi16ELi16EfPKfPfEv18rocblas_operation_iiT1_S4_T2_lllT3_llli
    .private_segment_fixed_size: 0
    .sgpr_count:     32
    .sgpr_spill_count: 0
    .symbol:         _ZL27rocblas_geam_inplace_deviceILi16ELi16EfPKfPfEv18rocblas_operation_iiT1_S4_T2_lllT3_llli.kd
    .uniform_work_group_size: 1
    .uses_dynamic_stack: false
    .vgpr_count:     9
    .vgpr_spill_count: 0
    .wavefront_size: 64
  - .agpr_count:     0
    .args:
      - .offset:         0
        .size:           4
        .value_kind:     by_value
      - .offset:         4
        .size:           4
        .value_kind:     by_value
      - .offset:         8
        .size:           4
        .value_kind:     by_value
      - .address_space:  global
        .offset:         16
        .size:           8
        .value_kind:     global_buffer
      - .address_space:  global
        .offset:         24
        .size:           8
        .value_kind:     global_buffer
      - .address_space:  global
        .offset:         32
        .size:           8
        .value_kind:     global_buffer
      - .offset:         40
        .size:           8
        .value_kind:     by_value
      - .offset:         48
        .size:           8
        .value_kind:     by_value
      - .offset:         56
        .size:           8
        .value_kind:     by_value
      - .address_space:  global
        .offset:         64
        .size:           8
        .value_kind:     global_buffer
      - .offset:         72
        .size:           8
        .value_kind:     by_value
      - .offset:         80
        .size:           8
        .value_kind:     by_value
      - .offset:         88
        .size:           8
        .value_kind:     by_value
      - .offset:         96
        .size:           4
        .value_kind:     by_value
    .group_segment_fixed_size: 0
    .kernarg_segment_align: 8
    .kernarg_segment_size: 100
    .language:       OpenCL C
    .language_version:
      - 2
      - 0
    .max_flat_workgroup_size: 256
    .name:           _ZL27rocblas_geam_inplace_deviceILi16ELi16EPKfS1_PfEv18rocblas_operation_iiT1_S4_T2_lllT3_llli
    .private_segment_fixed_size: 0
    .sgpr_count:     36
    .sgpr_spill_count: 0
    .symbol:         _ZL27rocblas_geam_inplace_deviceILi16ELi16EPKfS1_PfEv18rocblas_operation_iiT1_S4_T2_lllT3_llli.kd
    .uniform_work_group_size: 1
    .uses_dynamic_stack: false
    .vgpr_count:     9
    .vgpr_spill_count: 0
    .wavefront_size: 64
  - .agpr_count:     0
    .args:
      - .offset:         0
        .size:           8
        .value_kind:     by_value
      - .offset:         8
        .size:           4
        .value_kind:     by_value
      - .address_space:  global
        .offset:         16
        .size:           8
        .value_kind:     global_buffer
      - .offset:         24
        .size:           8
        .value_kind:     by_value
      - .offset:         32
        .size:           8
        .value_kind:     by_value
      - .address_space:  global
        .offset:         40
        .size:           8
        .value_kind:     global_buffer
      - .offset:         48
        .size:           8
        .value_kind:     by_value
      - .offset:         56
        .size:           8
        .value_kind:     by_value
      - .offset:         64
        .size:           4
        .value_kind:     by_value
      - .offset:         72
        .size:           4
        .value_kind:     hidden_block_count_x
      - .offset:         76
        .size:           4
        .value_kind:     hidden_block_count_y
      - .offset:         80
        .size:           4
        .value_kind:     hidden_block_count_z
      - .offset:         84
        .size:           2
        .value_kind:     hidden_group_size_x
      - .offset:         86
        .size:           2
        .value_kind:     hidden_group_size_y
      - .offset:         88
        .size:           2
        .value_kind:     hidden_group_size_z
      - .offset:         90
        .size:           2
        .value_kind:     hidden_remainder_x
      - .offset:         92
        .size:           2
        .value_kind:     hidden_remainder_y
      - .offset:         94
        .size:           2
        .value_kind:     hidden_remainder_z
      - .offset:         112
        .size:           8
        .value_kind:     hidden_global_offset_x
      - .offset:         120
        .size:           8
        .value_kind:     hidden_global_offset_y
      - .offset:         128
        .size:           8
        .value_kind:     hidden_global_offset_z
      - .offset:         136
        .size:           2
        .value_kind:     hidden_grid_dims
    .group_segment_fixed_size: 0
    .kernarg_segment_align: 8
    .kernarg_segment_size: 328
    .language:       OpenCL C
    .language_version:
      - 2
      - 0
    .max_flat_workgroup_size: 256
    .name:           _ZL30rocblas_geam_1D_2matrix_deviceILi256EfPKfPfEvmT0_T1_llT2_lli
    .private_segment_fixed_size: 0
    .sgpr_count:     20
    .sgpr_spill_count: 0
    .symbol:         _ZL30rocblas_geam_1D_2matrix_deviceILi256EfPKfPfEvmT0_T1_llT2_lli.kd
    .uniform_work_group_size: 1
    .uses_dynamic_stack: false
    .vgpr_count:     4
    .vgpr_spill_count: 0
    .wavefront_size: 64
  - .agpr_count:     0
    .args:
      - .offset:         0
        .size:           4
        .value_kind:     by_value
      - .offset:         4
        .size:           4
        .value_kind:     by_value
      - .offset:         8
        .size:           4
        .value_kind:     by_value
      - .offset:         12
        .size:           4
        .value_kind:     by_value
      - .address_space:  global
        .offset:         16
        .size:           8
        .value_kind:     global_buffer
      - .offset:         24
        .size:           8
        .value_kind:     by_value
      - .offset:         32
        .size:           8
        .value_kind:     by_value
      - .offset:         40
        .size:           8
        .value_kind:     by_value
      - .address_space:  global
        .offset:         48
        .size:           8
        .value_kind:     global_buffer
      - .offset:         56
        .size:           8
        .value_kind:     by_value
      - .offset:         64
        .size:           8
        .value_kind:     by_value
      - .offset:         72
        .size:           8
        .value_kind:     by_value
      - .offset:         80
        .size:           4
        .value_kind:     by_value
    .group_segment_fixed_size: 0
    .kernarg_segment_align: 8
    .kernarg_segment_size: 84
    .language:       OpenCL C
    .language_version:
      - 2
      - 0
    .max_flat_workgroup_size: 256
    .name:           _ZL27rocblas_geam_2matrix_deviceILi16ELi16EfPKfPfEv18rocblas_operation_iiT1_T2_lllT3_llli
    .private_segment_fixed_size: 0
    .sgpr_count:     32
    .sgpr_spill_count: 0
    .symbol:         _ZL27rocblas_geam_2matrix_deviceILi16ELi16EfPKfPfEv18rocblas_operation_iiT1_T2_lllT3_llli.kd
    .uniform_work_group_size: 1
    .uses_dynamic_stack: false
    .vgpr_count:     10
    .vgpr_spill_count: 0
    .wavefront_size: 64
  - .agpr_count:     0
    .args:
      - .offset:         0
        .size:           8
        .value_kind:     by_value
      - .offset:         8
        .size:           4
        .value_kind:     by_value
      - .address_space:  global
        .offset:         16
        .size:           8
        .value_kind:     global_buffer
      - .offset:         24
        .size:           8
        .value_kind:     by_value
      - .offset:         32
        .size:           8
        .value_kind:     by_value
      - .offset:         40
        .size:           4
        .value_kind:     by_value
      - .address_space:  global
        .offset:         48
        .size:           8
        .value_kind:     global_buffer
      - .offset:         56
        .size:           8
        .value_kind:     by_value
      - .offset:         64
        .size:           8
        .value_kind:     by_value
      - .address_space:  global
        .offset:         72
        .size:           8
        .value_kind:     global_buffer
      - .offset:         80
        .size:           8
        .value_kind:     by_value
      - .offset:         88
        .size:           8
        .value_kind:     by_value
      - .offset:         96
        .size:           4
        .value_kind:     by_value
      - .offset:         104
        .size:           4
        .value_kind:     hidden_block_count_x
      - .offset:         108
        .size:           4
        .value_kind:     hidden_block_count_y
      - .offset:         112
        .size:           4
        .value_kind:     hidden_block_count_z
      - .offset:         116
        .size:           2
        .value_kind:     hidden_group_size_x
      - .offset:         118
        .size:           2
        .value_kind:     hidden_group_size_y
      - .offset:         120
        .size:           2
        .value_kind:     hidden_group_size_z
      - .offset:         122
        .size:           2
        .value_kind:     hidden_remainder_x
      - .offset:         124
        .size:           2
        .value_kind:     hidden_remainder_y
      - .offset:         126
        .size:           2
        .value_kind:     hidden_remainder_z
      - .offset:         144
        .size:           8
        .value_kind:     hidden_global_offset_x
      - .offset:         152
        .size:           8
        .value_kind:     hidden_global_offset_y
      - .offset:         160
        .size:           8
        .value_kind:     hidden_global_offset_z
      - .offset:         168
        .size:           2
        .value_kind:     hidden_grid_dims
    .group_segment_fixed_size: 0
    .kernarg_segment_align: 8
    .kernarg_segment_size: 360
    .language:       OpenCL C
    .language_version:
      - 2
      - 0
    .max_flat_workgroup_size: 256
    .name:           _ZL22rocblas_geam_1D_deviceILi256EfPKfPfEvmT0_T1_llS3_S4_llT2_lli
    .private_segment_fixed_size: 0
    .sgpr_count:     28
    .sgpr_spill_count: 0
    .symbol:         _ZL22rocblas_geam_1D_deviceILi256EfPKfPfEvmT0_T1_llS3_S4_llT2_lli.kd
    .uniform_work_group_size: 1
    .uses_dynamic_stack: false
    .vgpr_count:     6
    .vgpr_spill_count: 0
    .wavefront_size: 64
  - .agpr_count:     0
    .args:
      - .offset:         0
        .size:           8
        .value_kind:     by_value
      - .address_space:  global
        .offset:         8
        .size:           8
        .value_kind:     global_buffer
      - .address_space:  global
        .offset:         16
        .size:           8
        .value_kind:     global_buffer
      - .offset:         24
        .size:           8
        .value_kind:     by_value
      - .offset:         32
        .size:           8
        .value_kind:     by_value
      - .address_space:  global
        .offset:         40
        .size:           8
        .value_kind:     global_buffer
      - .address_space:  global
        .offset:         48
        .size:           8
        .value_kind:     global_buffer
      - .offset:         56
        .size:           8
        .value_kind:     by_value
      - .offset:         64
        .size:           8
        .value_kind:     by_value
      - .address_space:  global
        .offset:         72
        .size:           8
        .value_kind:     global_buffer
      - .offset:         80
        .size:           8
        .value_kind:     by_value
      - .offset:         88
        .size:           8
        .value_kind:     by_value
      - .offset:         96
        .size:           4
        .value_kind:     by_value
      - .offset:         104
        .size:           4
        .value_kind:     hidden_block_count_x
      - .offset:         108
        .size:           4
        .value_kind:     hidden_block_count_y
      - .offset:         112
        .size:           4
        .value_kind:     hidden_block_count_z
      - .offset:         116
        .size:           2
        .value_kind:     hidden_group_size_x
      - .offset:         118
        .size:           2
        .value_kind:     hidden_group_size_y
      - .offset:         120
        .size:           2
        .value_kind:     hidden_group_size_z
      - .offset:         122
        .size:           2
        .value_kind:     hidden_remainder_x
      - .offset:         124
        .size:           2
        .value_kind:     hidden_remainder_y
      - .offset:         126
        .size:           2
        .value_kind:     hidden_remainder_z
      - .offset:         144
        .size:           8
        .value_kind:     hidden_global_offset_x
      - .offset:         152
        .size:           8
        .value_kind:     hidden_global_offset_y
      - .offset:         160
        .size:           8
        .value_kind:     hidden_global_offset_z
      - .offset:         168
        .size:           2
        .value_kind:     hidden_grid_dims
    .group_segment_fixed_size: 0
    .kernarg_segment_align: 8
    .kernarg_segment_size: 360
    .language:       OpenCL C
    .language_version:
      - 2
      - 0
    .max_flat_workgroup_size: 256
    .name:           _ZL22rocblas_geam_1D_deviceILi256EPKfS1_PfEvmT0_T1_llS3_S4_llT2_lli
    .private_segment_fixed_size: 0
    .sgpr_count:     36
    .sgpr_spill_count: 0
    .symbol:         _ZL22rocblas_geam_1D_deviceILi256EPKfS1_PfEvmT0_T1_llS3_S4_llT2_lli.kd
    .uniform_work_group_size: 1
    .uses_dynamic_stack: false
    .vgpr_count:     6
    .vgpr_spill_count: 0
    .wavefront_size: 64
  - .agpr_count:     0
    .args:
      - .offset:         0
        .size:           4
        .value_kind:     by_value
      - .offset:         4
        .size:           4
        .value_kind:     by_value
      - .offset:         8
        .size:           4
        .value_kind:     by_value
      - .offset:         12
        .size:           4
        .value_kind:     by_value
      - .offset:         16
        .size:           4
        .value_kind:     by_value
      - .address_space:  global
        .offset:         24
        .size:           8
        .value_kind:     global_buffer
      - .offset:         32
        .size:           8
        .value_kind:     by_value
      - .offset:         40
        .size:           8
        .value_kind:     by_value
      - .offset:         48
        .size:           8
        .value_kind:     by_value
      - .offset:         56
        .size:           4
        .value_kind:     by_value
      - .address_space:  global
        .offset:         64
        .size:           8
        .value_kind:     global_buffer
      - .offset:         72
        .size:           8
        .value_kind:     by_value
      - .offset:         80
        .size:           8
        .value_kind:     by_value
      - .offset:         88
        .size:           8
        .value_kind:     by_value
      - .address_space:  global
        .offset:         96
        .size:           8
        .value_kind:     global_buffer
      - .offset:         104
        .size:           8
        .value_kind:     by_value
      - .offset:         112
        .size:           8
        .value_kind:     by_value
      - .offset:         120
        .size:           8
        .value_kind:     by_value
      - .offset:         128
        .size:           4
        .value_kind:     by_value
    .group_segment_fixed_size: 0
    .kernarg_segment_align: 8
    .kernarg_segment_size: 132
    .language:       OpenCL C
    .language_version:
      - 2
      - 0
    .max_flat_workgroup_size: 256
    .name:           _ZL19rocblas_geam_deviceILi16ELi16EfPKfPfEv18rocblas_operation_S3_iiT1_T2_lllS4_S5_lllT3_llli
    .private_segment_fixed_size: 0
    .sgpr_count:     32
    .sgpr_spill_count: 0
    .symbol:         _ZL19rocblas_geam_deviceILi16ELi16EfPKfPfEv18rocblas_operation_S3_iiT1_T2_lllS4_S5_lllT3_llli.kd
    .uniform_work_group_size: 1
    .uses_dynamic_stack: false
    .vgpr_count:     12
    .vgpr_spill_count: 0
    .wavefront_size: 64
  - .agpr_count:     0
    .args:
      - .offset:         0
        .size:           4
        .value_kind:     by_value
      - .offset:         4
        .size:           4
        .value_kind:     by_value
      - .offset:         8
        .size:           4
        .value_kind:     by_value
      - .offset:         12
        .size:           4
        .value_kind:     by_value
      - .address_space:  global
        .offset:         16
        .size:           8
        .value_kind:     global_buffer
      - .address_space:  global
        .offset:         24
        .size:           8
        .value_kind:     global_buffer
      - .offset:         32
        .size:           8
        .value_kind:     by_value
      - .offset:         40
        .size:           8
        .value_kind:     by_value
      - .offset:         48
        .size:           8
        .value_kind:     by_value
      - .address_space:  global
        .offset:         56
        .size:           8
        .value_kind:     global_buffer
      - .address_space:  global
        .offset:         64
        .size:           8
        .value_kind:     global_buffer
      - .offset:         72
        .size:           8
        .value_kind:     by_value
      - .offset:         80
        .size:           8
        .value_kind:     by_value
      - .offset:         88
        .size:           8
        .value_kind:     by_value
      - .address_space:  global
        .offset:         96
        .size:           8
        .value_kind:     global_buffer
      - .offset:         104
        .size:           8
        .value_kind:     by_value
      - .offset:         112
        .size:           8
        .value_kind:     by_value
      - .offset:         120
        .size:           8
        .value_kind:     by_value
      - .offset:         128
        .size:           4
        .value_kind:     by_value
    .group_segment_fixed_size: 0
    .kernarg_segment_align: 8
    .kernarg_segment_size: 132
    .language:       OpenCL C
    .language_version:
      - 2
      - 0
    .max_flat_workgroup_size: 256
    .name:           _ZL19rocblas_geam_deviceILi16ELi16EPKfS1_PfEv18rocblas_operation_S3_iiT1_T2_lllS4_S5_lllT3_llli
    .private_segment_fixed_size: 0
    .sgpr_count:     32
    .sgpr_spill_count: 0
    .symbol:         _ZL19rocblas_geam_deviceILi16ELi16EPKfS1_PfEv18rocblas_operation_S3_iiT1_T2_lllS4_S5_lllT3_llli.kd
    .uniform_work_group_size: 1
    .uses_dynamic_stack: false
    .vgpr_count:     12
    .vgpr_spill_count: 0
    .wavefront_size: 64
  - .agpr_count:     0
    .args:
      - .offset:         0
        .size:           4
        .value_kind:     by_value
      - .offset:         4
        .size:           4
        .value_kind:     by_value
      - .address_space:  global
        .offset:         8
        .size:           8
        .value_kind:     global_buffer
      - .offset:         16
        .size:           8
        .value_kind:     by_value
      - .offset:         24
        .size:           8
        .value_kind:     by_value
      - .offset:         32
        .size:           8
        .value_kind:     by_value
      - .offset:         40
        .size:           4
        .value_kind:     by_value
    .group_segment_fixed_size: 0
    .kernarg_segment_align: 8
    .kernarg_segment_size: 44
    .language:       OpenCL C
    .language_version:
      - 2
      - 0
    .max_flat_workgroup_size: 256
    .name:           _ZL31rocblas_geam_zero_matrix_deviceILi16ELi16EPdEviiT1_llli
    .private_segment_fixed_size: 0
    .sgpr_count:     20
    .sgpr_spill_count: 0
    .symbol:         _ZL31rocblas_geam_zero_matrix_deviceILi16ELi16EPdEviiT1_llli.kd
    .uniform_work_group_size: 1
    .uses_dynamic_stack: false
    .vgpr_count:     6
    .vgpr_spill_count: 0
    .wavefront_size: 64
  - .agpr_count:     0
    .args:
      - .offset:         0
        .size:           4
        .value_kind:     by_value
      - .offset:         4
        .size:           4
        .value_kind:     by_value
      - .offset:         8
        .size:           4
        .value_kind:     by_value
      - .offset:         16
        .size:           8
        .value_kind:     by_value
      - .offset:         24
        .size:           8
        .value_kind:     by_value
      - .address_space:  global
        .offset:         32
        .size:           8
        .value_kind:     global_buffer
      - .offset:         40
        .size:           8
        .value_kind:     by_value
      - .offset:         48
        .size:           8
        .value_kind:     by_value
      - .offset:         56
        .size:           8
        .value_kind:     by_value
      - .address_space:  global
        .offset:         64
        .size:           8
        .value_kind:     global_buffer
      - .offset:         72
        .size:           8
        .value_kind:     by_value
      - .offset:         80
        .size:           8
        .value_kind:     by_value
      - .offset:         88
        .size:           8
        .value_kind:     by_value
      - .offset:         96
        .size:           4
        .value_kind:     by_value
    .group_segment_fixed_size: 0
    .kernarg_segment_align: 8
    .kernarg_segment_size: 100
    .language:       OpenCL C
    .language_version:
      - 2
      - 0
    .max_flat_workgroup_size: 256
    .name:           _ZL27rocblas_geam_inplace_deviceILi16ELi16EdPKdPdEv18rocblas_operation_iiT1_S4_T2_lllT3_llli
    .private_segment_fixed_size: 0
    .sgpr_count:     32
    .sgpr_spill_count: 0
    .symbol:         _ZL27rocblas_geam_inplace_deviceILi16ELi16EdPKdPdEv18rocblas_operation_iiT1_S4_T2_lllT3_llli.kd
    .uniform_work_group_size: 1
    .uses_dynamic_stack: false
    .vgpr_count:     9
    .vgpr_spill_count: 0
    .wavefront_size: 64
  - .agpr_count:     0
    .args:
      - .offset:         0
        .size:           4
        .value_kind:     by_value
      - .offset:         4
        .size:           4
        .value_kind:     by_value
      - .offset:         8
        .size:           4
        .value_kind:     by_value
      - .address_space:  global
        .offset:         16
        .size:           8
        .value_kind:     global_buffer
      - .address_space:  global
        .offset:         24
        .size:           8
        .value_kind:     global_buffer
      - .address_space:  global
        .offset:         32
        .size:           8
        .value_kind:     global_buffer
      - .offset:         40
        .size:           8
        .value_kind:     by_value
      - .offset:         48
        .size:           8
        .value_kind:     by_value
      - .offset:         56
        .size:           8
        .value_kind:     by_value
      - .address_space:  global
        .offset:         64
        .size:           8
        .value_kind:     global_buffer
      - .offset:         72
        .size:           8
        .value_kind:     by_value
      - .offset:         80
        .size:           8
        .value_kind:     by_value
      - .offset:         88
        .size:           8
        .value_kind:     by_value
      - .offset:         96
        .size:           4
        .value_kind:     by_value
    .group_segment_fixed_size: 0
    .kernarg_segment_align: 8
    .kernarg_segment_size: 100
    .language:       OpenCL C
    .language_version:
      - 2
      - 0
    .max_flat_workgroup_size: 256
    .name:           _ZL27rocblas_geam_inplace_deviceILi16ELi16EPKdS1_PdEv18rocblas_operation_iiT1_S4_T2_lllT3_llli
    .private_segment_fixed_size: 0
    .sgpr_count:     36
    .sgpr_spill_count: 0
    .symbol:         _ZL27rocblas_geam_inplace_deviceILi16ELi16EPKdS1_PdEv18rocblas_operation_iiT1_S4_T2_lllT3_llli.kd
    .uniform_work_group_size: 1
    .uses_dynamic_stack: false
    .vgpr_count:     9
    .vgpr_spill_count: 0
    .wavefront_size: 64
  - .agpr_count:     0
    .args:
      - .offset:         0
        .size:           8
        .value_kind:     by_value
      - .offset:         8
        .size:           8
        .value_kind:     by_value
      - .address_space:  global
        .offset:         16
        .size:           8
        .value_kind:     global_buffer
      - .offset:         24
        .size:           8
        .value_kind:     by_value
      - .offset:         32
        .size:           8
        .value_kind:     by_value
      - .address_space:  global
        .offset:         40
        .size:           8
        .value_kind:     global_buffer
      - .offset:         48
        .size:           8
        .value_kind:     by_value
      - .offset:         56
        .size:           8
        .value_kind:     by_value
      - .offset:         64
        .size:           4
        .value_kind:     by_value
      - .offset:         72
        .size:           4
        .value_kind:     hidden_block_count_x
      - .offset:         76
        .size:           4
        .value_kind:     hidden_block_count_y
      - .offset:         80
        .size:           4
        .value_kind:     hidden_block_count_z
      - .offset:         84
        .size:           2
        .value_kind:     hidden_group_size_x
      - .offset:         86
        .size:           2
        .value_kind:     hidden_group_size_y
      - .offset:         88
        .size:           2
        .value_kind:     hidden_group_size_z
      - .offset:         90
        .size:           2
        .value_kind:     hidden_remainder_x
      - .offset:         92
        .size:           2
        .value_kind:     hidden_remainder_y
      - .offset:         94
        .size:           2
        .value_kind:     hidden_remainder_z
      - .offset:         112
        .size:           8
        .value_kind:     hidden_global_offset_x
      - .offset:         120
        .size:           8
        .value_kind:     hidden_global_offset_y
      - .offset:         128
        .size:           8
        .value_kind:     hidden_global_offset_z
      - .offset:         136
        .size:           2
        .value_kind:     hidden_grid_dims
    .group_segment_fixed_size: 0
    .kernarg_segment_align: 8
    .kernarg_segment_size: 328
    .language:       OpenCL C
    .language_version:
      - 2
      - 0
    .max_flat_workgroup_size: 256
    .name:           _ZL30rocblas_geam_1D_2matrix_deviceILi256EdPKdPdEvmT0_T1_llT2_lli
    .private_segment_fixed_size: 0
    .sgpr_count:     28
    .sgpr_spill_count: 0
    .symbol:         _ZL30rocblas_geam_1D_2matrix_deviceILi256EdPKdPdEvmT0_T1_llT2_lli.kd
    .uniform_work_group_size: 1
    .uses_dynamic_stack: false
    .vgpr_count:     5
    .vgpr_spill_count: 0
    .wavefront_size: 64
  - .agpr_count:     0
    .args:
      - .offset:         0
        .size:           4
        .value_kind:     by_value
      - .offset:         4
        .size:           4
        .value_kind:     by_value
      - .offset:         8
        .size:           4
        .value_kind:     by_value
      - .offset:         16
        .size:           8
        .value_kind:     by_value
      - .address_space:  global
        .offset:         24
        .size:           8
        .value_kind:     global_buffer
      - .offset:         32
        .size:           8
        .value_kind:     by_value
      - .offset:         40
        .size:           8
        .value_kind:     by_value
      - .offset:         48
        .size:           8
        .value_kind:     by_value
      - .address_space:  global
        .offset:         56
        .size:           8
        .value_kind:     global_buffer
      - .offset:         64
        .size:           8
        .value_kind:     by_value
      - .offset:         72
        .size:           8
        .value_kind:     by_value
      - .offset:         80
        .size:           8
        .value_kind:     by_value
      - .offset:         88
        .size:           4
        .value_kind:     by_value
    .group_segment_fixed_size: 0
    .kernarg_segment_align: 8
    .kernarg_segment_size: 92
    .language:       OpenCL C
    .language_version:
      - 2
      - 0
    .max_flat_workgroup_size: 256
    .name:           _ZL27rocblas_geam_2matrix_deviceILi16ELi16EdPKdPdEv18rocblas_operation_iiT1_T2_lllT3_llli
    .private_segment_fixed_size: 0
    .sgpr_count:     32
    .sgpr_spill_count: 0
    .symbol:         _ZL27rocblas_geam_2matrix_deviceILi16ELi16EdPKdPdEv18rocblas_operation_iiT1_T2_lllT3_llli.kd
    .uniform_work_group_size: 1
    .uses_dynamic_stack: false
    .vgpr_count:     10
    .vgpr_spill_count: 0
    .wavefront_size: 64
  - .agpr_count:     0
    .args:
      - .offset:         0
        .size:           8
        .value_kind:     by_value
      - .offset:         8
        .size:           8
        .value_kind:     by_value
      - .address_space:  global
        .offset:         16
        .size:           8
        .value_kind:     global_buffer
      - .offset:         24
        .size:           8
        .value_kind:     by_value
      - .offset:         32
        .size:           8
        .value_kind:     by_value
      - .offset:         40
        .size:           8
        .value_kind:     by_value
      - .address_space:  global
        .offset:         48
        .size:           8
        .value_kind:     global_buffer
      - .offset:         56
        .size:           8
        .value_kind:     by_value
      - .offset:         64
        .size:           8
        .value_kind:     by_value
      - .address_space:  global
        .offset:         72
        .size:           8
        .value_kind:     global_buffer
      - .offset:         80
        .size:           8
        .value_kind:     by_value
      - .offset:         88
        .size:           8
        .value_kind:     by_value
      - .offset:         96
        .size:           4
        .value_kind:     by_value
      - .offset:         104
        .size:           4
        .value_kind:     hidden_block_count_x
      - .offset:         108
        .size:           4
        .value_kind:     hidden_block_count_y
      - .offset:         112
        .size:           4
        .value_kind:     hidden_block_count_z
      - .offset:         116
        .size:           2
        .value_kind:     hidden_group_size_x
      - .offset:         118
        .size:           2
        .value_kind:     hidden_group_size_y
      - .offset:         120
        .size:           2
        .value_kind:     hidden_group_size_z
      - .offset:         122
        .size:           2
        .value_kind:     hidden_remainder_x
      - .offset:         124
        .size:           2
        .value_kind:     hidden_remainder_y
      - .offset:         126
        .size:           2
        .value_kind:     hidden_remainder_z
      - .offset:         144
        .size:           8
        .value_kind:     hidden_global_offset_x
      - .offset:         152
        .size:           8
        .value_kind:     hidden_global_offset_y
      - .offset:         160
        .size:           8
        .value_kind:     hidden_global_offset_z
      - .offset:         168
        .size:           2
        .value_kind:     hidden_grid_dims
    .group_segment_fixed_size: 0
    .kernarg_segment_align: 8
    .kernarg_segment_size: 360
    .language:       OpenCL C
    .language_version:
      - 2
      - 0
    .max_flat_workgroup_size: 256
    .name:           _ZL22rocblas_geam_1D_deviceILi256EdPKdPdEvmT0_T1_llS3_S4_llT2_lli
    .private_segment_fixed_size: 0
    .sgpr_count:     36
    .sgpr_spill_count: 0
    .symbol:         _ZL22rocblas_geam_1D_deviceILi256EdPKdPdEvmT0_T1_llS3_S4_llT2_lli.kd
    .uniform_work_group_size: 1
    .uses_dynamic_stack: false
    .vgpr_count:     7
    .vgpr_spill_count: 0
    .wavefront_size: 64
  - .agpr_count:     0
    .args:
      - .offset:         0
        .size:           8
        .value_kind:     by_value
      - .address_space:  global
        .offset:         8
        .size:           8
        .value_kind:     global_buffer
      - .address_space:  global
        .offset:         16
        .size:           8
        .value_kind:     global_buffer
      - .offset:         24
        .size:           8
        .value_kind:     by_value
      - .offset:         32
        .size:           8
        .value_kind:     by_value
      - .address_space:  global
        .offset:         40
        .size:           8
        .value_kind:     global_buffer
      - .address_space:  global
        .offset:         48
        .size:           8
        .value_kind:     global_buffer
      - .offset:         56
        .size:           8
        .value_kind:     by_value
      - .offset:         64
        .size:           8
        .value_kind:     by_value
      - .address_space:  global
        .offset:         72
        .size:           8
        .value_kind:     global_buffer
      - .offset:         80
        .size:           8
        .value_kind:     by_value
      - .offset:         88
        .size:           8
        .value_kind:     by_value
      - .offset:         96
        .size:           4
        .value_kind:     by_value
      - .offset:         104
        .size:           4
        .value_kind:     hidden_block_count_x
      - .offset:         108
        .size:           4
        .value_kind:     hidden_block_count_y
      - .offset:         112
        .size:           4
        .value_kind:     hidden_block_count_z
      - .offset:         116
        .size:           2
        .value_kind:     hidden_group_size_x
      - .offset:         118
        .size:           2
        .value_kind:     hidden_group_size_y
      - .offset:         120
        .size:           2
        .value_kind:     hidden_group_size_z
      - .offset:         122
        .size:           2
        .value_kind:     hidden_remainder_x
      - .offset:         124
        .size:           2
        .value_kind:     hidden_remainder_y
      - .offset:         126
        .size:           2
        .value_kind:     hidden_remainder_z
      - .offset:         144
        .size:           8
        .value_kind:     hidden_global_offset_x
      - .offset:         152
        .size:           8
        .value_kind:     hidden_global_offset_y
      - .offset:         160
        .size:           8
        .value_kind:     hidden_global_offset_z
      - .offset:         168
        .size:           2
        .value_kind:     hidden_grid_dims
    .group_segment_fixed_size: 0
    .kernarg_segment_align: 8
    .kernarg_segment_size: 360
    .language:       OpenCL C
    .language_version:
      - 2
      - 0
    .max_flat_workgroup_size: 256
    .name:           _ZL22rocblas_geam_1D_deviceILi256EPKdS1_PdEvmT0_T1_llS3_S4_llT2_lli
    .private_segment_fixed_size: 0
    .sgpr_count:     36
    .sgpr_spill_count: 0
    .symbol:         _ZL22rocblas_geam_1D_deviceILi256EPKdS1_PdEvmT0_T1_llS3_S4_llT2_lli.kd
    .uniform_work_group_size: 1
    .uses_dynamic_stack: false
    .vgpr_count:     7
    .vgpr_spill_count: 0
    .wavefront_size: 64
  - .agpr_count:     0
    .args:
      - .offset:         0
        .size:           4
        .value_kind:     by_value
      - .offset:         4
        .size:           4
        .value_kind:     by_value
      - .offset:         8
        .size:           4
        .value_kind:     by_value
      - .offset:         12
        .size:           4
        .value_kind:     by_value
      - .offset:         16
        .size:           8
        .value_kind:     by_value
      - .address_space:  global
        .offset:         24
        .size:           8
        .value_kind:     global_buffer
      - .offset:         32
        .size:           8
        .value_kind:     by_value
      - .offset:         40
        .size:           8
        .value_kind:     by_value
      - .offset:         48
        .size:           8
        .value_kind:     by_value
      - .offset:         56
        .size:           8
        .value_kind:     by_value
      - .address_space:  global
        .offset:         64
        .size:           8
        .value_kind:     global_buffer
      - .offset:         72
        .size:           8
        .value_kind:     by_value
      - .offset:         80
        .size:           8
        .value_kind:     by_value
      - .offset:         88
        .size:           8
        .value_kind:     by_value
      - .address_space:  global
        .offset:         96
        .size:           8
        .value_kind:     global_buffer
      - .offset:         104
        .size:           8
        .value_kind:     by_value
      - .offset:         112
        .size:           8
        .value_kind:     by_value
      - .offset:         120
        .size:           8
        .value_kind:     by_value
      - .offset:         128
        .size:           4
        .value_kind:     by_value
    .group_segment_fixed_size: 0
    .kernarg_segment_align: 8
    .kernarg_segment_size: 132
    .language:       OpenCL C
    .language_version:
      - 2
      - 0
    .max_flat_workgroup_size: 256
    .name:           _ZL19rocblas_geam_deviceILi16ELi16EdPKdPdEv18rocblas_operation_S3_iiT1_T2_lllS4_S5_lllT3_llli
    .private_segment_fixed_size: 0
    .sgpr_count:     44
    .sgpr_spill_count: 0
    .symbol:         _ZL19rocblas_geam_deviceILi16ELi16EdPKdPdEv18rocblas_operation_S3_iiT1_T2_lllS4_S5_lllT3_llli.kd
    .uniform_work_group_size: 1
    .uses_dynamic_stack: false
    .vgpr_count:     12
    .vgpr_spill_count: 0
    .wavefront_size: 64
  - .agpr_count:     0
    .args:
      - .offset:         0
        .size:           4
        .value_kind:     by_value
      - .offset:         4
        .size:           4
        .value_kind:     by_value
      - .offset:         8
        .size:           4
        .value_kind:     by_value
      - .offset:         12
        .size:           4
        .value_kind:     by_value
      - .address_space:  global
        .offset:         16
        .size:           8
        .value_kind:     global_buffer
      - .address_space:  global
        .offset:         24
        .size:           8
        .value_kind:     global_buffer
      - .offset:         32
        .size:           8
        .value_kind:     by_value
      - .offset:         40
        .size:           8
        .value_kind:     by_value
      - .offset:         48
        .size:           8
        .value_kind:     by_value
      - .address_space:  global
        .offset:         56
        .size:           8
        .value_kind:     global_buffer
      - .address_space:  global
        .offset:         64
        .size:           8
        .value_kind:     global_buffer
      - .offset:         72
        .size:           8
        .value_kind:     by_value
      - .offset:         80
        .size:           8
        .value_kind:     by_value
      - .offset:         88
        .size:           8
        .value_kind:     by_value
      - .address_space:  global
        .offset:         96
        .size:           8
        .value_kind:     global_buffer
      - .offset:         104
        .size:           8
        .value_kind:     by_value
      - .offset:         112
        .size:           8
        .value_kind:     by_value
      - .offset:         120
        .size:           8
        .value_kind:     by_value
      - .offset:         128
        .size:           4
        .value_kind:     by_value
    .group_segment_fixed_size: 0
    .kernarg_segment_align: 8
    .kernarg_segment_size: 132
    .language:       OpenCL C
    .language_version:
      - 2
      - 0
    .max_flat_workgroup_size: 256
    .name:           _ZL19rocblas_geam_deviceILi16ELi16EPKdS1_PdEv18rocblas_operation_S3_iiT1_T2_lllS4_S5_lllT3_llli
    .private_segment_fixed_size: 0
    .sgpr_count:     32
    .sgpr_spill_count: 0
    .symbol:         _ZL19rocblas_geam_deviceILi16ELi16EPKdS1_PdEv18rocblas_operation_S3_iiT1_T2_lllS4_S5_lllT3_llli.kd
    .uniform_work_group_size: 1
    .uses_dynamic_stack: false
    .vgpr_count:     12
    .vgpr_spill_count: 0
    .wavefront_size: 64
  - .agpr_count:     0
    .args:
      - .offset:         0
        .size:           4
        .value_kind:     by_value
      - .offset:         4
        .size:           4
        .value_kind:     by_value
      - .address_space:  global
        .offset:         8
        .size:           8
        .value_kind:     global_buffer
      - .offset:         16
        .size:           8
        .value_kind:     by_value
      - .offset:         24
        .size:           8
        .value_kind:     by_value
      - .offset:         32
        .size:           8
        .value_kind:     by_value
      - .offset:         40
        .size:           4
        .value_kind:     by_value
    .group_segment_fixed_size: 0
    .kernarg_segment_align: 8
    .kernarg_segment_size: 44
    .language:       OpenCL C
    .language_version:
      - 2
      - 0
    .max_flat_workgroup_size: 256
    .name:           _ZL31rocblas_geam_zero_matrix_deviceILi16ELi16EP19rocblas_complex_numIfEEviiT1_llli
    .private_segment_fixed_size: 0
    .sgpr_count:     20
    .sgpr_spill_count: 0
    .symbol:         _ZL31rocblas_geam_zero_matrix_deviceILi16ELi16EP19rocblas_complex_numIfEEviiT1_llli.kd
    .uniform_work_group_size: 1
    .uses_dynamic_stack: false
    .vgpr_count:     6
    .vgpr_spill_count: 0
    .wavefront_size: 64
  - .agpr_count:     0
    .args:
      - .offset:         0
        .size:           4
        .value_kind:     by_value
      - .offset:         4
        .size:           4
        .value_kind:     by_value
      - .offset:         8
        .size:           4
        .value_kind:     by_value
      - .offset:         12
        .size:           8
        .value_kind:     by_value
      - .offset:         20
        .size:           8
        .value_kind:     by_value
      - .address_space:  global
        .offset:         32
        .size:           8
        .value_kind:     global_buffer
      - .offset:         40
        .size:           8
        .value_kind:     by_value
      - .offset:         48
        .size:           8
        .value_kind:     by_value
      - .offset:         56
        .size:           8
        .value_kind:     by_value
      - .address_space:  global
        .offset:         64
        .size:           8
        .value_kind:     global_buffer
      - .offset:         72
        .size:           8
        .value_kind:     by_value
      - .offset:         80
        .size:           8
        .value_kind:     by_value
      - .offset:         88
        .size:           8
        .value_kind:     by_value
      - .offset:         96
        .size:           4
        .value_kind:     by_value
    .group_segment_fixed_size: 0
    .kernarg_segment_align: 8
    .kernarg_segment_size: 100
    .language:       OpenCL C
    .language_version:
      - 2
      - 0
    .max_flat_workgroup_size: 256
    .name:           _ZL27rocblas_geam_inplace_deviceILi16ELi16E19rocblas_complex_numIfEPKS1_PS1_Ev18rocblas_operation_iiT1_S6_T2_lllT3_llli
    .private_segment_fixed_size: 0
    .sgpr_count:     32
    .sgpr_spill_count: 0
    .symbol:         _ZL27rocblas_geam_inplace_deviceILi16ELi16E19rocblas_complex_numIfEPKS1_PS1_Ev18rocblas_operation_iiT1_S6_T2_lllT3_llli.kd
    .uniform_work_group_size: 1
    .uses_dynamic_stack: false
    .vgpr_count:     10
    .vgpr_spill_count: 0
    .wavefront_size: 64
  - .agpr_count:     0
    .args:
      - .offset:         0
        .size:           4
        .value_kind:     by_value
      - .offset:         4
        .size:           4
        .value_kind:     by_value
      - .offset:         8
        .size:           4
        .value_kind:     by_value
      - .address_space:  global
        .offset:         16
        .size:           8
        .value_kind:     global_buffer
      - .address_space:  global
        .offset:         24
        .size:           8
        .value_kind:     global_buffer
      - .address_space:  global
        .offset:         32
        .size:           8
        .value_kind:     global_buffer
      - .offset:         40
        .size:           8
        .value_kind:     by_value
      - .offset:         48
        .size:           8
        .value_kind:     by_value
      - .offset:         56
        .size:           8
        .value_kind:     by_value
      - .address_space:  global
        .offset:         64
        .size:           8
        .value_kind:     global_buffer
      - .offset:         72
        .size:           8
        .value_kind:     by_value
      - .offset:         80
        .size:           8
        .value_kind:     by_value
      - .offset:         88
        .size:           8
        .value_kind:     by_value
      - .offset:         96
        .size:           4
        .value_kind:     by_value
    .group_segment_fixed_size: 0
    .kernarg_segment_align: 8
    .kernarg_segment_size: 100
    .language:       OpenCL C
    .language_version:
      - 2
      - 0
    .max_flat_workgroup_size: 256
    .name:           _ZL27rocblas_geam_inplace_deviceILi16ELi16EPK19rocblas_complex_numIfES3_PS1_Ev18rocblas_operation_iiT1_S6_T2_lllT3_llli
    .private_segment_fixed_size: 0
    .sgpr_count:     36
    .sgpr_spill_count: 0
    .symbol:         _ZL27rocblas_geam_inplace_deviceILi16ELi16EPK19rocblas_complex_numIfES3_PS1_Ev18rocblas_operation_iiT1_S6_T2_lllT3_llli.kd
    .uniform_work_group_size: 1
    .uses_dynamic_stack: false
    .vgpr_count:     10
    .vgpr_spill_count: 0
    .wavefront_size: 64
  - .agpr_count:     0
    .args:
      - .offset:         0
        .size:           8
        .value_kind:     by_value
      - .offset:         8
        .size:           8
        .value_kind:     by_value
      - .address_space:  global
        .offset:         16
        .size:           8
        .value_kind:     global_buffer
      - .offset:         24
        .size:           8
        .value_kind:     by_value
      - .offset:         32
        .size:           8
        .value_kind:     by_value
      - .address_space:  global
        .offset:         40
        .size:           8
        .value_kind:     global_buffer
      - .offset:         48
        .size:           8
        .value_kind:     by_value
      - .offset:         56
        .size:           8
        .value_kind:     by_value
      - .offset:         64
        .size:           4
        .value_kind:     by_value
      - .offset:         72
        .size:           4
        .value_kind:     hidden_block_count_x
      - .offset:         76
        .size:           4
        .value_kind:     hidden_block_count_y
      - .offset:         80
        .size:           4
        .value_kind:     hidden_block_count_z
      - .offset:         84
        .size:           2
        .value_kind:     hidden_group_size_x
      - .offset:         86
        .size:           2
        .value_kind:     hidden_group_size_y
      - .offset:         88
        .size:           2
        .value_kind:     hidden_group_size_z
      - .offset:         90
        .size:           2
        .value_kind:     hidden_remainder_x
      - .offset:         92
        .size:           2
        .value_kind:     hidden_remainder_y
      - .offset:         94
        .size:           2
        .value_kind:     hidden_remainder_z
      - .offset:         112
        .size:           8
        .value_kind:     hidden_global_offset_x
      - .offset:         120
        .size:           8
        .value_kind:     hidden_global_offset_y
      - .offset:         128
        .size:           8
        .value_kind:     hidden_global_offset_z
      - .offset:         136
        .size:           2
        .value_kind:     hidden_grid_dims
    .group_segment_fixed_size: 0
    .kernarg_segment_align: 8
    .kernarg_segment_size: 328
    .language:       OpenCL C
    .language_version:
      - 2
      - 0
    .max_flat_workgroup_size: 256
    .name:           _ZL30rocblas_geam_1D_2matrix_deviceILi256E19rocblas_complex_numIfEPKS1_PS1_EvmT0_T1_llT2_lli
    .private_segment_fixed_size: 0
    .sgpr_count:     24
    .sgpr_spill_count: 0
    .symbol:         _ZL30rocblas_geam_1D_2matrix_deviceILi256E19rocblas_complex_numIfEPKS1_PS1_EvmT0_T1_llT2_lli.kd
    .uniform_work_group_size: 1
    .uses_dynamic_stack: false
    .vgpr_count:     8
    .vgpr_spill_count: 0
    .wavefront_size: 64
  - .agpr_count:     0
    .args:
      - .offset:         0
        .size:           4
        .value_kind:     by_value
      - .offset:         4
        .size:           4
        .value_kind:     by_value
      - .offset:         8
        .size:           4
        .value_kind:     by_value
      - .offset:         12
        .size:           8
        .value_kind:     by_value
      - .address_space:  global
        .offset:         24
        .size:           8
        .value_kind:     global_buffer
      - .offset:         32
        .size:           8
        .value_kind:     by_value
      - .offset:         40
        .size:           8
        .value_kind:     by_value
      - .offset:         48
        .size:           8
        .value_kind:     by_value
      - .address_space:  global
        .offset:         56
        .size:           8
        .value_kind:     global_buffer
      - .offset:         64
        .size:           8
        .value_kind:     by_value
      - .offset:         72
        .size:           8
        .value_kind:     by_value
      - .offset:         80
        .size:           8
        .value_kind:     by_value
      - .offset:         88
        .size:           4
        .value_kind:     by_value
    .group_segment_fixed_size: 0
    .kernarg_segment_align: 8
    .kernarg_segment_size: 92
    .language:       OpenCL C
    .language_version:
      - 2
      - 0
    .max_flat_workgroup_size: 256
    .name:           _ZL27rocblas_geam_2matrix_deviceILi16ELi16E19rocblas_complex_numIfEPKS1_PS1_Ev18rocblas_operation_iiT1_T2_lllT3_llli
    .private_segment_fixed_size: 0
    .sgpr_count:     32
    .sgpr_spill_count: 0
    .symbol:         _ZL27rocblas_geam_2matrix_deviceILi16ELi16E19rocblas_complex_numIfEPKS1_PS1_Ev18rocblas_operation_iiT1_T2_lllT3_llli.kd
    .uniform_work_group_size: 1
    .uses_dynamic_stack: false
    .vgpr_count:     10
    .vgpr_spill_count: 0
    .wavefront_size: 64
  - .agpr_count:     0
    .args:
      - .offset:         0
        .size:           8
        .value_kind:     by_value
      - .offset:         8
        .size:           8
        .value_kind:     by_value
      - .address_space:  global
        .offset:         16
        .size:           8
        .value_kind:     global_buffer
      - .offset:         24
        .size:           8
        .value_kind:     by_value
      - .offset:         32
        .size:           8
        .value_kind:     by_value
      - .offset:         40
        .size:           8
        .value_kind:     by_value
      - .address_space:  global
        .offset:         48
        .size:           8
        .value_kind:     global_buffer
      - .offset:         56
        .size:           8
        .value_kind:     by_value
      - .offset:         64
        .size:           8
        .value_kind:     by_value
      - .address_space:  global
        .offset:         72
        .size:           8
        .value_kind:     global_buffer
      - .offset:         80
        .size:           8
        .value_kind:     by_value
      - .offset:         88
        .size:           8
        .value_kind:     by_value
      - .offset:         96
        .size:           4
        .value_kind:     by_value
      - .offset:         104
        .size:           4
        .value_kind:     hidden_block_count_x
      - .offset:         108
        .size:           4
        .value_kind:     hidden_block_count_y
      - .offset:         112
        .size:           4
        .value_kind:     hidden_block_count_z
      - .offset:         116
        .size:           2
        .value_kind:     hidden_group_size_x
      - .offset:         118
        .size:           2
        .value_kind:     hidden_group_size_y
      - .offset:         120
        .size:           2
        .value_kind:     hidden_group_size_z
      - .offset:         122
        .size:           2
        .value_kind:     hidden_remainder_x
      - .offset:         124
        .size:           2
        .value_kind:     hidden_remainder_y
      - .offset:         126
        .size:           2
        .value_kind:     hidden_remainder_z
      - .offset:         144
        .size:           8
        .value_kind:     hidden_global_offset_x
      - .offset:         152
        .size:           8
        .value_kind:     hidden_global_offset_y
      - .offset:         160
        .size:           8
        .value_kind:     hidden_global_offset_z
      - .offset:         168
        .size:           2
        .value_kind:     hidden_grid_dims
    .group_segment_fixed_size: 0
    .kernarg_segment_align: 8
    .kernarg_segment_size: 360
    .language:       OpenCL C
    .language_version:
      - 2
      - 0
    .max_flat_workgroup_size: 256
    .name:           _ZL22rocblas_geam_1D_deviceILi256E19rocblas_complex_numIfEPKS1_PS1_EvmT0_T1_llS5_S6_llT2_lli
    .private_segment_fixed_size: 0
    .sgpr_count:     26
    .sgpr_spill_count: 0
    .symbol:         _ZL22rocblas_geam_1D_deviceILi256E19rocblas_complex_numIfEPKS1_PS1_EvmT0_T1_llS5_S6_llT2_lli.kd
    .uniform_work_group_size: 1
    .uses_dynamic_stack: false
    .vgpr_count:     10
    .vgpr_spill_count: 0
    .wavefront_size: 64
  - .agpr_count:     0
    .args:
      - .offset:         0
        .size:           8
        .value_kind:     by_value
      - .address_space:  global
        .offset:         8
        .size:           8
        .value_kind:     global_buffer
      - .address_space:  global
        .offset:         16
        .size:           8
        .value_kind:     global_buffer
      - .offset:         24
        .size:           8
        .value_kind:     by_value
      - .offset:         32
        .size:           8
        .value_kind:     by_value
      - .address_space:  global
        .offset:         40
        .size:           8
        .value_kind:     global_buffer
      - .address_space:  global
        .offset:         48
        .size:           8
        .value_kind:     global_buffer
      - .offset:         56
        .size:           8
        .value_kind:     by_value
      - .offset:         64
        .size:           8
        .value_kind:     by_value
      - .address_space:  global
        .offset:         72
        .size:           8
        .value_kind:     global_buffer
      - .offset:         80
        .size:           8
        .value_kind:     by_value
      - .offset:         88
        .size:           8
        .value_kind:     by_value
      - .offset:         96
        .size:           4
        .value_kind:     by_value
      - .offset:         104
        .size:           4
        .value_kind:     hidden_block_count_x
      - .offset:         108
        .size:           4
        .value_kind:     hidden_block_count_y
      - .offset:         112
        .size:           4
        .value_kind:     hidden_block_count_z
      - .offset:         116
        .size:           2
        .value_kind:     hidden_group_size_x
      - .offset:         118
        .size:           2
        .value_kind:     hidden_group_size_y
      - .offset:         120
        .size:           2
        .value_kind:     hidden_group_size_z
      - .offset:         122
        .size:           2
        .value_kind:     hidden_remainder_x
      - .offset:         124
        .size:           2
        .value_kind:     hidden_remainder_y
      - .offset:         126
        .size:           2
        .value_kind:     hidden_remainder_z
      - .offset:         144
        .size:           8
        .value_kind:     hidden_global_offset_x
      - .offset:         152
        .size:           8
        .value_kind:     hidden_global_offset_y
      - .offset:         160
        .size:           8
        .value_kind:     hidden_global_offset_z
      - .offset:         168
        .size:           2
        .value_kind:     hidden_grid_dims
    .group_segment_fixed_size: 0
    .kernarg_segment_align: 8
    .kernarg_segment_size: 360
    .language:       OpenCL C
    .language_version:
      - 2
      - 0
    .max_flat_workgroup_size: 256
    .name:           _ZL22rocblas_geam_1D_deviceILi256EPK19rocblas_complex_numIfES3_PS1_EvmT0_T1_llS5_S6_llT2_lli
    .private_segment_fixed_size: 0
    .sgpr_count:     36
    .sgpr_spill_count: 0
    .symbol:         _ZL22rocblas_geam_1D_deviceILi256EPK19rocblas_complex_numIfES3_PS1_EvmT0_T1_llS5_S6_llT2_lli.kd
    .uniform_work_group_size: 1
    .uses_dynamic_stack: false
    .vgpr_count:     10
    .vgpr_spill_count: 0
    .wavefront_size: 64
  - .agpr_count:     0
    .args:
      - .offset:         0
        .size:           4
        .value_kind:     by_value
      - .offset:         4
        .size:           4
        .value_kind:     by_value
      - .offset:         8
        .size:           4
        .value_kind:     by_value
      - .offset:         12
        .size:           4
        .value_kind:     by_value
      - .offset:         16
        .size:           8
        .value_kind:     by_value
      - .address_space:  global
        .offset:         24
        .size:           8
        .value_kind:     global_buffer
      - .offset:         32
        .size:           8
        .value_kind:     by_value
      - .offset:         40
        .size:           8
        .value_kind:     by_value
      - .offset:         48
        .size:           8
        .value_kind:     by_value
      - .offset:         56
        .size:           8
        .value_kind:     by_value
      - .address_space:  global
        .offset:         64
        .size:           8
        .value_kind:     global_buffer
      - .offset:         72
        .size:           8
        .value_kind:     by_value
      - .offset:         80
        .size:           8
        .value_kind:     by_value
      - .offset:         88
        .size:           8
        .value_kind:     by_value
      - .address_space:  global
        .offset:         96
        .size:           8
        .value_kind:     global_buffer
      - .offset:         104
        .size:           8
        .value_kind:     by_value
      - .offset:         112
        .size:           8
        .value_kind:     by_value
      - .offset:         120
        .size:           8
        .value_kind:     by_value
      - .offset:         128
        .size:           4
        .value_kind:     by_value
    .group_segment_fixed_size: 0
    .kernarg_segment_align: 8
    .kernarg_segment_size: 132
    .language:       OpenCL C
    .language_version:
      - 2
      - 0
    .max_flat_workgroup_size: 256
    .name:           _ZL19rocblas_geam_deviceILi16ELi16E19rocblas_complex_numIfEPKS1_PS1_Ev18rocblas_operation_S5_iiT1_T2_lllS6_S7_lllT3_llli
    .private_segment_fixed_size: 0
    .sgpr_count:     32
    .sgpr_spill_count: 0
    .symbol:         _ZL19rocblas_geam_deviceILi16ELi16E19rocblas_complex_numIfEPKS1_PS1_Ev18rocblas_operation_S5_iiT1_T2_lllS6_S7_lllT3_llli.kd
    .uniform_work_group_size: 1
    .uses_dynamic_stack: false
    .vgpr_count:     12
    .vgpr_spill_count: 0
    .wavefront_size: 64
  - .agpr_count:     0
    .args:
      - .offset:         0
        .size:           4
        .value_kind:     by_value
      - .offset:         4
        .size:           4
        .value_kind:     by_value
      - .offset:         8
        .size:           4
        .value_kind:     by_value
      - .offset:         12
        .size:           4
        .value_kind:     by_value
      - .address_space:  global
        .offset:         16
        .size:           8
        .value_kind:     global_buffer
      - .address_space:  global
        .offset:         24
        .size:           8
        .value_kind:     global_buffer
      - .offset:         32
        .size:           8
        .value_kind:     by_value
      - .offset:         40
        .size:           8
        .value_kind:     by_value
      - .offset:         48
        .size:           8
        .value_kind:     by_value
      - .address_space:  global
        .offset:         56
        .size:           8
        .value_kind:     global_buffer
      - .address_space:  global
        .offset:         64
        .size:           8
        .value_kind:     global_buffer
      - .offset:         72
        .size:           8
        .value_kind:     by_value
      - .offset:         80
        .size:           8
        .value_kind:     by_value
      - .offset:         88
        .size:           8
        .value_kind:     by_value
      - .address_space:  global
        .offset:         96
        .size:           8
        .value_kind:     global_buffer
      - .offset:         104
        .size:           8
        .value_kind:     by_value
      - .offset:         112
        .size:           8
        .value_kind:     by_value
      - .offset:         120
        .size:           8
        .value_kind:     by_value
      - .offset:         128
        .size:           4
        .value_kind:     by_value
    .group_segment_fixed_size: 0
    .kernarg_segment_align: 8
    .kernarg_segment_size: 132
    .language:       OpenCL C
    .language_version:
      - 2
      - 0
    .max_flat_workgroup_size: 256
    .name:           _ZL19rocblas_geam_deviceILi16ELi16EPK19rocblas_complex_numIfES3_PS1_Ev18rocblas_operation_S5_iiT1_T2_lllS6_S7_lllT3_llli
    .private_segment_fixed_size: 0
    .sgpr_count:     32
    .sgpr_spill_count: 0
    .symbol:         _ZL19rocblas_geam_deviceILi16ELi16EPK19rocblas_complex_numIfES3_PS1_Ev18rocblas_operation_S5_iiT1_T2_lllS6_S7_lllT3_llli.kd
    .uniform_work_group_size: 1
    .uses_dynamic_stack: false
    .vgpr_count:     12
    .vgpr_spill_count: 0
    .wavefront_size: 64
  - .agpr_count:     0
    .args:
      - .offset:         0
        .size:           4
        .value_kind:     by_value
      - .offset:         4
        .size:           4
        .value_kind:     by_value
      - .address_space:  global
        .offset:         8
        .size:           8
        .value_kind:     global_buffer
      - .offset:         16
        .size:           8
        .value_kind:     by_value
      - .offset:         24
        .size:           8
        .value_kind:     by_value
      - .offset:         32
        .size:           8
        .value_kind:     by_value
      - .offset:         40
        .size:           4
        .value_kind:     by_value
    .group_segment_fixed_size: 0
    .kernarg_segment_align: 8
    .kernarg_segment_size: 44
    .language:       OpenCL C
    .language_version:
      - 2
      - 0
    .max_flat_workgroup_size: 256
    .name:           _ZL31rocblas_geam_zero_matrix_deviceILi16ELi16EP19rocblas_complex_numIdEEviiT1_llli
    .private_segment_fixed_size: 0
    .sgpr_count:     20
    .sgpr_spill_count: 0
    .symbol:         _ZL31rocblas_geam_zero_matrix_deviceILi16ELi16EP19rocblas_complex_numIdEEviiT1_llli.kd
    .uniform_work_group_size: 1
    .uses_dynamic_stack: false
    .vgpr_count:     6
    .vgpr_spill_count: 0
    .wavefront_size: 64
  - .agpr_count:     0
    .args:
      - .offset:         0
        .size:           4
        .value_kind:     by_value
      - .offset:         4
        .size:           4
        .value_kind:     by_value
      - .offset:         8
        .size:           4
        .value_kind:     by_value
      - .offset:         16
        .size:           16
        .value_kind:     by_value
      - .offset:         32
        .size:           16
        .value_kind:     by_value
      - .address_space:  global
        .offset:         48
        .size:           8
        .value_kind:     global_buffer
      - .offset:         56
        .size:           8
        .value_kind:     by_value
      - .offset:         64
        .size:           8
        .value_kind:     by_value
      - .offset:         72
        .size:           8
        .value_kind:     by_value
      - .address_space:  global
        .offset:         80
        .size:           8
        .value_kind:     global_buffer
      - .offset:         88
        .size:           8
        .value_kind:     by_value
      - .offset:         96
        .size:           8
        .value_kind:     by_value
      - .offset:         104
        .size:           8
        .value_kind:     by_value
      - .offset:         112
        .size:           4
        .value_kind:     by_value
    .group_segment_fixed_size: 0
    .kernarg_segment_align: 8
    .kernarg_segment_size: 116
    .language:       OpenCL C
    .language_version:
      - 2
      - 0
    .max_flat_workgroup_size: 256
    .name:           _ZL27rocblas_geam_inplace_deviceILi16ELi16E19rocblas_complex_numIdEPKS1_PS1_Ev18rocblas_operation_iiT1_S6_T2_lllT3_llli
    .private_segment_fixed_size: 0
    .sgpr_count:     48
    .sgpr_spill_count: 0
    .symbol:         _ZL27rocblas_geam_inplace_deviceILi16ELi16E19rocblas_complex_numIdEPKS1_PS1_Ev18rocblas_operation_iiT1_S6_T2_lllT3_llli.kd
    .uniform_work_group_size: 1
    .uses_dynamic_stack: false
    .vgpr_count:     14
    .vgpr_spill_count: 0
    .wavefront_size: 64
  - .agpr_count:     0
    .args:
      - .offset:         0
        .size:           4
        .value_kind:     by_value
      - .offset:         4
        .size:           4
        .value_kind:     by_value
      - .offset:         8
        .size:           4
        .value_kind:     by_value
      - .address_space:  global
        .offset:         16
        .size:           8
        .value_kind:     global_buffer
      - .address_space:  global
        .offset:         24
        .size:           8
        .value_kind:     global_buffer
      - .address_space:  global
        .offset:         32
        .size:           8
        .value_kind:     global_buffer
      - .offset:         40
        .size:           8
        .value_kind:     by_value
      - .offset:         48
        .size:           8
        .value_kind:     by_value
      - .offset:         56
        .size:           8
        .value_kind:     by_value
      - .address_space:  global
        .offset:         64
        .size:           8
        .value_kind:     global_buffer
      - .offset:         72
        .size:           8
        .value_kind:     by_value
      - .offset:         80
        .size:           8
        .value_kind:     by_value
      - .offset:         88
        .size:           8
        .value_kind:     by_value
      - .offset:         96
        .size:           4
        .value_kind:     by_value
    .group_segment_fixed_size: 0
    .kernarg_segment_align: 8
    .kernarg_segment_size: 100
    .language:       OpenCL C
    .language_version:
      - 2
      - 0
    .max_flat_workgroup_size: 256
    .name:           _ZL27rocblas_geam_inplace_deviceILi16ELi16EPK19rocblas_complex_numIdES3_PS1_Ev18rocblas_operation_iiT1_S6_T2_lllT3_llli
    .private_segment_fixed_size: 0
    .sgpr_count:     44
    .sgpr_spill_count: 0
    .symbol:         _ZL27rocblas_geam_inplace_deviceILi16ELi16EPK19rocblas_complex_numIdES3_PS1_Ev18rocblas_operation_iiT1_S6_T2_lllT3_llli.kd
    .uniform_work_group_size: 1
    .uses_dynamic_stack: false
    .vgpr_count:     14
    .vgpr_spill_count: 0
    .wavefront_size: 64
  - .agpr_count:     0
    .args:
      - .offset:         0
        .size:           8
        .value_kind:     by_value
      - .offset:         8
        .size:           16
        .value_kind:     by_value
      - .address_space:  global
        .offset:         24
        .size:           8
        .value_kind:     global_buffer
      - .offset:         32
        .size:           8
        .value_kind:     by_value
      - .offset:         40
        .size:           8
        .value_kind:     by_value
      - .address_space:  global
        .offset:         48
        .size:           8
        .value_kind:     global_buffer
      - .offset:         56
        .size:           8
        .value_kind:     by_value
      - .offset:         64
        .size:           8
        .value_kind:     by_value
      - .offset:         72
        .size:           4
        .value_kind:     by_value
      - .offset:         80
        .size:           4
        .value_kind:     hidden_block_count_x
      - .offset:         84
        .size:           4
        .value_kind:     hidden_block_count_y
      - .offset:         88
        .size:           4
        .value_kind:     hidden_block_count_z
      - .offset:         92
        .size:           2
        .value_kind:     hidden_group_size_x
      - .offset:         94
        .size:           2
        .value_kind:     hidden_group_size_y
      - .offset:         96
        .size:           2
        .value_kind:     hidden_group_size_z
      - .offset:         98
        .size:           2
        .value_kind:     hidden_remainder_x
      - .offset:         100
        .size:           2
        .value_kind:     hidden_remainder_y
      - .offset:         102
        .size:           2
        .value_kind:     hidden_remainder_z
      - .offset:         120
        .size:           8
        .value_kind:     hidden_global_offset_x
      - .offset:         128
        .size:           8
        .value_kind:     hidden_global_offset_y
      - .offset:         136
        .size:           8
        .value_kind:     hidden_global_offset_z
      - .offset:         144
        .size:           2
        .value_kind:     hidden_grid_dims
    .group_segment_fixed_size: 0
    .kernarg_segment_align: 8
    .kernarg_segment_size: 336
    .language:       OpenCL C
    .language_version:
      - 2
      - 0
    .max_flat_workgroup_size: 256
    .name:           _ZL30rocblas_geam_1D_2matrix_deviceILi256E19rocblas_complex_numIdEPKS1_PS1_EvmT0_T1_llT2_lli
    .private_segment_fixed_size: 0
    .sgpr_count:     28
    .sgpr_spill_count: 0
    .symbol:         _ZL30rocblas_geam_1D_2matrix_deviceILi256E19rocblas_complex_numIdEPKS1_PS1_EvmT0_T1_llT2_lli.kd
    .uniform_work_group_size: 1
    .uses_dynamic_stack: false
    .vgpr_count:     10
    .vgpr_spill_count: 0
    .wavefront_size: 64
  - .agpr_count:     0
    .args:
      - .offset:         0
        .size:           4
        .value_kind:     by_value
      - .offset:         4
        .size:           4
        .value_kind:     by_value
      - .offset:         8
        .size:           4
        .value_kind:     by_value
      - .offset:         16
        .size:           16
        .value_kind:     by_value
      - .address_space:  global
        .offset:         32
        .size:           8
        .value_kind:     global_buffer
      - .offset:         40
        .size:           8
        .value_kind:     by_value
      - .offset:         48
        .size:           8
        .value_kind:     by_value
      - .offset:         56
        .size:           8
        .value_kind:     by_value
      - .address_space:  global
        .offset:         64
        .size:           8
        .value_kind:     global_buffer
      - .offset:         72
        .size:           8
        .value_kind:     by_value
      - .offset:         80
        .size:           8
        .value_kind:     by_value
      - .offset:         88
        .size:           8
        .value_kind:     by_value
      - .offset:         96
        .size:           4
        .value_kind:     by_value
    .group_segment_fixed_size: 0
    .kernarg_segment_align: 8
    .kernarg_segment_size: 100
    .language:       OpenCL C
    .language_version:
      - 2
      - 0
    .max_flat_workgroup_size: 256
    .name:           _ZL27rocblas_geam_2matrix_deviceILi16ELi16E19rocblas_complex_numIdEPKS1_PS1_Ev18rocblas_operation_iiT1_T2_lllT3_llli
    .private_segment_fixed_size: 0
    .sgpr_count:     32
    .sgpr_spill_count: 0
    .symbol:         _ZL27rocblas_geam_2matrix_deviceILi16ELi16E19rocblas_complex_numIdEPKS1_PS1_Ev18rocblas_operation_iiT1_T2_lllT3_llli.kd
    .uniform_work_group_size: 1
    .uses_dynamic_stack: false
    .vgpr_count:     12
    .vgpr_spill_count: 0
    .wavefront_size: 64
  - .agpr_count:     0
    .args:
      - .offset:         0
        .size:           8
        .value_kind:     by_value
      - .offset:         8
        .size:           16
        .value_kind:     by_value
      - .address_space:  global
        .offset:         24
        .size:           8
        .value_kind:     global_buffer
      - .offset:         32
        .size:           8
        .value_kind:     by_value
      - .offset:         40
        .size:           8
        .value_kind:     by_value
      - .offset:         48
        .size:           16
        .value_kind:     by_value
      - .address_space:  global
        .offset:         64
        .size:           8
        .value_kind:     global_buffer
      - .offset:         72
        .size:           8
        .value_kind:     by_value
      - .offset:         80
        .size:           8
        .value_kind:     by_value
      - .address_space:  global
        .offset:         88
        .size:           8
        .value_kind:     global_buffer
      - .offset:         96
        .size:           8
        .value_kind:     by_value
      - .offset:         104
        .size:           8
        .value_kind:     by_value
      - .offset:         112
        .size:           4
        .value_kind:     by_value
      - .offset:         120
        .size:           4
        .value_kind:     hidden_block_count_x
      - .offset:         124
        .size:           4
        .value_kind:     hidden_block_count_y
      - .offset:         128
        .size:           4
        .value_kind:     hidden_block_count_z
      - .offset:         132
        .size:           2
        .value_kind:     hidden_group_size_x
      - .offset:         134
        .size:           2
        .value_kind:     hidden_group_size_y
      - .offset:         136
        .size:           2
        .value_kind:     hidden_group_size_z
      - .offset:         138
        .size:           2
        .value_kind:     hidden_remainder_x
      - .offset:         140
        .size:           2
        .value_kind:     hidden_remainder_y
      - .offset:         142
        .size:           2
        .value_kind:     hidden_remainder_z
      - .offset:         160
        .size:           8
        .value_kind:     hidden_global_offset_x
      - .offset:         168
        .size:           8
        .value_kind:     hidden_global_offset_y
      - .offset:         176
        .size:           8
        .value_kind:     hidden_global_offset_z
      - .offset:         184
        .size:           2
        .value_kind:     hidden_grid_dims
    .group_segment_fixed_size: 0
    .kernarg_segment_align: 8
    .kernarg_segment_size: 376
    .language:       OpenCL C
    .language_version:
      - 2
      - 0
    .max_flat_workgroup_size: 256
    .name:           _ZL22rocblas_geam_1D_deviceILi256E19rocblas_complex_numIdEPKS1_PS1_EvmT0_T1_llS5_S6_llT2_lli
    .private_segment_fixed_size: 0
    .sgpr_count:     40
    .sgpr_spill_count: 0
    .symbol:         _ZL22rocblas_geam_1D_deviceILi256E19rocblas_complex_numIdEPKS1_PS1_EvmT0_T1_llS5_S6_llT2_lli.kd
    .uniform_work_group_size: 1
    .uses_dynamic_stack: false
    .vgpr_count:     14
    .vgpr_spill_count: 0
    .wavefront_size: 64
  - .agpr_count:     0
    .args:
      - .offset:         0
        .size:           8
        .value_kind:     by_value
      - .address_space:  global
        .offset:         8
        .size:           8
        .value_kind:     global_buffer
      - .address_space:  global
        .offset:         16
        .size:           8
        .value_kind:     global_buffer
      - .offset:         24
        .size:           8
        .value_kind:     by_value
      - .offset:         32
        .size:           8
        .value_kind:     by_value
      - .address_space:  global
        .offset:         40
        .size:           8
        .value_kind:     global_buffer
      - .address_space:  global
        .offset:         48
        .size:           8
        .value_kind:     global_buffer
      - .offset:         56
        .size:           8
        .value_kind:     by_value
      - .offset:         64
        .size:           8
        .value_kind:     by_value
      - .address_space:  global
        .offset:         72
        .size:           8
        .value_kind:     global_buffer
      - .offset:         80
        .size:           8
        .value_kind:     by_value
      - .offset:         88
        .size:           8
        .value_kind:     by_value
      - .offset:         96
        .size:           4
        .value_kind:     by_value
      - .offset:         104
        .size:           4
        .value_kind:     hidden_block_count_x
      - .offset:         108
        .size:           4
        .value_kind:     hidden_block_count_y
      - .offset:         112
        .size:           4
        .value_kind:     hidden_block_count_z
      - .offset:         116
        .size:           2
        .value_kind:     hidden_group_size_x
      - .offset:         118
        .size:           2
        .value_kind:     hidden_group_size_y
      - .offset:         120
        .size:           2
        .value_kind:     hidden_group_size_z
      - .offset:         122
        .size:           2
        .value_kind:     hidden_remainder_x
      - .offset:         124
        .size:           2
        .value_kind:     hidden_remainder_y
      - .offset:         126
        .size:           2
        .value_kind:     hidden_remainder_z
      - .offset:         144
        .size:           8
        .value_kind:     hidden_global_offset_x
      - .offset:         152
        .size:           8
        .value_kind:     hidden_global_offset_y
      - .offset:         160
        .size:           8
        .value_kind:     hidden_global_offset_z
      - .offset:         168
        .size:           2
        .value_kind:     hidden_grid_dims
    .group_segment_fixed_size: 0
    .kernarg_segment_align: 8
    .kernarg_segment_size: 360
    .language:       OpenCL C
    .language_version:
      - 2
      - 0
    .max_flat_workgroup_size: 256
    .name:           _ZL22rocblas_geam_1D_deviceILi256EPK19rocblas_complex_numIdES3_PS1_EvmT0_T1_llS5_S6_llT2_lli
    .private_segment_fixed_size: 0
    .sgpr_count:     44
    .sgpr_spill_count: 0
    .symbol:         _ZL22rocblas_geam_1D_deviceILi256EPK19rocblas_complex_numIdES3_PS1_EvmT0_T1_llS5_S6_llT2_lli.kd
    .uniform_work_group_size: 1
    .uses_dynamic_stack: false
    .vgpr_count:     14
    .vgpr_spill_count: 0
    .wavefront_size: 64
  - .agpr_count:     0
    .args:
      - .offset:         0
        .size:           4
        .value_kind:     by_value
      - .offset:         4
        .size:           4
        .value_kind:     by_value
      - .offset:         8
        .size:           4
        .value_kind:     by_value
      - .offset:         12
        .size:           4
        .value_kind:     by_value
      - .offset:         16
        .size:           16
        .value_kind:     by_value
      - .address_space:  global
        .offset:         32
        .size:           8
        .value_kind:     global_buffer
      - .offset:         40
        .size:           8
        .value_kind:     by_value
      - .offset:         48
        .size:           8
        .value_kind:     by_value
      - .offset:         56
        .size:           8
        .value_kind:     by_value
      - .offset:         64
        .size:           16
        .value_kind:     by_value
      - .address_space:  global
        .offset:         80
        .size:           8
        .value_kind:     global_buffer
      - .offset:         88
        .size:           8
        .value_kind:     by_value
      - .offset:         96
        .size:           8
        .value_kind:     by_value
      - .offset:         104
        .size:           8
        .value_kind:     by_value
      - .address_space:  global
        .offset:         112
        .size:           8
        .value_kind:     global_buffer
      - .offset:         120
        .size:           8
        .value_kind:     by_value
      - .offset:         128
        .size:           8
        .value_kind:     by_value
      - .offset:         136
        .size:           8
        .value_kind:     by_value
      - .offset:         144
        .size:           4
        .value_kind:     by_value
    .group_segment_fixed_size: 0
    .kernarg_segment_align: 8
    .kernarg_segment_size: 148
    .language:       OpenCL C
    .language_version:
      - 2
      - 0
    .max_flat_workgroup_size: 256
    .name:           _ZL19rocblas_geam_deviceILi16ELi16E19rocblas_complex_numIdEPKS1_PS1_Ev18rocblas_operation_S5_iiT1_T2_lllS6_S7_lllT3_llli
    .private_segment_fixed_size: 0
    .sgpr_count:     56
    .sgpr_spill_count: 0
    .symbol:         _ZL19rocblas_geam_deviceILi16ELi16E19rocblas_complex_numIdEPKS1_PS1_Ev18rocblas_operation_S5_iiT1_T2_lllS6_S7_lllT3_llli.kd
    .uniform_work_group_size: 1
    .uses_dynamic_stack: false
    .vgpr_count:     14
    .vgpr_spill_count: 0
    .wavefront_size: 64
  - .agpr_count:     0
    .args:
      - .offset:         0
        .size:           4
        .value_kind:     by_value
      - .offset:         4
        .size:           4
        .value_kind:     by_value
      - .offset:         8
        .size:           4
        .value_kind:     by_value
      - .offset:         12
        .size:           4
        .value_kind:     by_value
      - .address_space:  global
        .offset:         16
        .size:           8
        .value_kind:     global_buffer
      - .address_space:  global
        .offset:         24
        .size:           8
        .value_kind:     global_buffer
      - .offset:         32
        .size:           8
        .value_kind:     by_value
      - .offset:         40
        .size:           8
        .value_kind:     by_value
      - .offset:         48
        .size:           8
        .value_kind:     by_value
      - .address_space:  global
        .offset:         56
        .size:           8
        .value_kind:     global_buffer
      - .address_space:  global
        .offset:         64
        .size:           8
        .value_kind:     global_buffer
      - .offset:         72
        .size:           8
        .value_kind:     by_value
      - .offset:         80
        .size:           8
        .value_kind:     by_value
      - .offset:         88
        .size:           8
        .value_kind:     by_value
      - .address_space:  global
        .offset:         96
        .size:           8
        .value_kind:     global_buffer
      - .offset:         104
        .size:           8
        .value_kind:     by_value
      - .offset:         112
        .size:           8
        .value_kind:     by_value
      - .offset:         120
        .size:           8
        .value_kind:     by_value
      - .offset:         128
        .size:           4
        .value_kind:     by_value
    .group_segment_fixed_size: 0
    .kernarg_segment_align: 8
    .kernarg_segment_size: 132
    .language:       OpenCL C
    .language_version:
      - 2
      - 0
    .max_flat_workgroup_size: 256
    .name:           _ZL19rocblas_geam_deviceILi16ELi16EPK19rocblas_complex_numIdES3_PS1_Ev18rocblas_operation_S5_iiT1_T2_lllS6_S7_lllT3_llli
    .private_segment_fixed_size: 0
    .sgpr_count:     36
    .sgpr_spill_count: 0
    .symbol:         _ZL19rocblas_geam_deviceILi16ELi16EPK19rocblas_complex_numIdES3_PS1_Ev18rocblas_operation_S5_iiT1_T2_lllS6_S7_lllT3_llli.kd
    .uniform_work_group_size: 1
    .uses_dynamic_stack: false
    .vgpr_count:     14
    .vgpr_spill_count: 0
    .wavefront_size: 64
  - .agpr_count:     0
    .args:
      - .offset:         0
        .size:           4
        .value_kind:     by_value
      - .offset:         4
        .size:           4
        .value_kind:     by_value
      - .address_space:  global
        .offset:         8
        .size:           8
        .value_kind:     global_buffer
      - .offset:         16
        .size:           8
        .value_kind:     by_value
      - .offset:         24
        .size:           8
        .value_kind:     by_value
      - .offset:         32
        .size:           8
        .value_kind:     by_value
      - .offset:         40
        .size:           4
        .value_kind:     by_value
    .group_segment_fixed_size: 0
    .kernarg_segment_align: 8
    .kernarg_segment_size: 44
    .language:       OpenCL C
    .language_version:
      - 2
      - 0
    .max_flat_workgroup_size: 256
    .name:           _ZL31rocblas_geam_zero_matrix_deviceILi16ELi16EPKPfEviiT1_llli
    .private_segment_fixed_size: 0
    .sgpr_count:     16
    .sgpr_spill_count: 0
    .symbol:         _ZL31rocblas_geam_zero_matrix_deviceILi16ELi16EPKPfEviiT1_llli.kd
    .uniform_work_group_size: 1
    .uses_dynamic_stack: false
    .vgpr_count:     6
    .vgpr_spill_count: 0
    .wavefront_size: 64
  - .agpr_count:     0
    .args:
      - .offset:         0
        .size:           4
        .value_kind:     by_value
      - .offset:         4
        .size:           4
        .value_kind:     by_value
      - .offset:         8
        .size:           4
        .value_kind:     by_value
      - .offset:         12
        .size:           4
        .value_kind:     by_value
      - .offset:         16
        .size:           4
        .value_kind:     by_value
      - .address_space:  global
        .offset:         24
        .size:           8
        .value_kind:     global_buffer
      - .offset:         32
        .size:           8
        .value_kind:     by_value
      - .offset:         40
        .size:           8
        .value_kind:     by_value
      - .offset:         48
        .size:           8
        .value_kind:     by_value
      - .address_space:  global
        .offset:         56
        .size:           8
        .value_kind:     global_buffer
      - .offset:         64
        .size:           8
        .value_kind:     by_value
      - .offset:         72
        .size:           8
        .value_kind:     by_value
      - .offset:         80
        .size:           8
        .value_kind:     by_value
      - .offset:         88
        .size:           4
        .value_kind:     by_value
    .group_segment_fixed_size: 0
    .kernarg_segment_align: 8
    .kernarg_segment_size: 92
    .language:       OpenCL C
    .language_version:
      - 2
      - 0
    .max_flat_workgroup_size: 256
    .name:           _ZL27rocblas_geam_inplace_deviceILi16ELi16EfPKPKfPKPfEv18rocblas_operation_iiT1_S8_T2_lllT3_llli
    .private_segment_fixed_size: 0
    .sgpr_count:     22
    .sgpr_spill_count: 0
    .symbol:         _ZL27rocblas_geam_inplace_deviceILi16ELi16EfPKPKfPKPfEv18rocblas_operation_iiT1_S8_T2_lllT3_llli.kd
    .uniform_work_group_size: 1
    .uses_dynamic_stack: false
    .vgpr_count:     9
    .vgpr_spill_count: 0
    .wavefront_size: 64
  - .agpr_count:     0
    .args:
      - .offset:         0
        .size:           4
        .value_kind:     by_value
      - .offset:         4
        .size:           4
        .value_kind:     by_value
      - .offset:         8
        .size:           4
        .value_kind:     by_value
      - .address_space:  global
        .offset:         16
        .size:           8
        .value_kind:     global_buffer
      - .address_space:  global
        .offset:         24
        .size:           8
        .value_kind:     global_buffer
      - .address_space:  global
        .offset:         32
        .size:           8
        .value_kind:     global_buffer
      - .offset:         40
        .size:           8
        .value_kind:     by_value
      - .offset:         48
        .size:           8
        .value_kind:     by_value
      - .offset:         56
        .size:           8
        .value_kind:     by_value
      - .address_space:  global
        .offset:         64
        .size:           8
        .value_kind:     global_buffer
      - .offset:         72
        .size:           8
        .value_kind:     by_value
      - .offset:         80
        .size:           8
        .value_kind:     by_value
      - .offset:         88
        .size:           8
        .value_kind:     by_value
      - .offset:         96
        .size:           4
        .value_kind:     by_value
    .group_segment_fixed_size: 0
    .kernarg_segment_align: 8
    .kernarg_segment_size: 100
    .language:       OpenCL C
    .language_version:
      - 2
      - 0
    .max_flat_workgroup_size: 256
    .name:           _ZL27rocblas_geam_inplace_deviceILi16ELi16EPKfPKS1_PKPfEv18rocblas_operation_iiT1_S8_T2_lllT3_llli
    .private_segment_fixed_size: 0
    .sgpr_count:     28
    .sgpr_spill_count: 0
    .symbol:         _ZL27rocblas_geam_inplace_deviceILi16ELi16EPKfPKS1_PKPfEv18rocblas_operation_iiT1_S8_T2_lllT3_llli.kd
    .uniform_work_group_size: 1
    .uses_dynamic_stack: false
    .vgpr_count:     9
    .vgpr_spill_count: 0
    .wavefront_size: 64
  - .agpr_count:     0
    .args:
      - .offset:         0
        .size:           8
        .value_kind:     by_value
      - .offset:         8
        .size:           4
        .value_kind:     by_value
      - .address_space:  global
        .offset:         16
        .size:           8
        .value_kind:     global_buffer
      - .offset:         24
        .size:           8
        .value_kind:     by_value
      - .offset:         32
        .size:           8
        .value_kind:     by_value
      - .address_space:  global
        .offset:         40
        .size:           8
        .value_kind:     global_buffer
      - .offset:         48
        .size:           8
        .value_kind:     by_value
      - .offset:         56
        .size:           8
        .value_kind:     by_value
      - .offset:         64
        .size:           4
        .value_kind:     by_value
      - .offset:         72
        .size:           4
        .value_kind:     hidden_block_count_x
      - .offset:         76
        .size:           4
        .value_kind:     hidden_block_count_y
      - .offset:         80
        .size:           4
        .value_kind:     hidden_block_count_z
      - .offset:         84
        .size:           2
        .value_kind:     hidden_group_size_x
      - .offset:         86
        .size:           2
        .value_kind:     hidden_group_size_y
      - .offset:         88
        .size:           2
        .value_kind:     hidden_group_size_z
      - .offset:         90
        .size:           2
        .value_kind:     hidden_remainder_x
      - .offset:         92
        .size:           2
        .value_kind:     hidden_remainder_y
      - .offset:         94
        .size:           2
        .value_kind:     hidden_remainder_z
      - .offset:         112
        .size:           8
        .value_kind:     hidden_global_offset_x
      - .offset:         120
        .size:           8
        .value_kind:     hidden_global_offset_y
      - .offset:         128
        .size:           8
        .value_kind:     hidden_global_offset_z
      - .offset:         136
        .size:           2
        .value_kind:     hidden_grid_dims
    .group_segment_fixed_size: 0
    .kernarg_segment_align: 8
    .kernarg_segment_size: 328
    .language:       OpenCL C
    .language_version:
      - 2
      - 0
    .max_flat_workgroup_size: 256
    .name:           _ZL30rocblas_geam_1D_2matrix_deviceILi256EfPKPKfPKPfEvmT0_T1_llT2_lli
    .private_segment_fixed_size: 0
    .sgpr_count:     20
    .sgpr_spill_count: 0
    .symbol:         _ZL30rocblas_geam_1D_2matrix_deviceILi256EfPKPKfPKPfEvmT0_T1_llT2_lli.kd
    .uniform_work_group_size: 1
    .uses_dynamic_stack: false
    .vgpr_count:     4
    .vgpr_spill_count: 0
    .wavefront_size: 64
  - .agpr_count:     0
    .args:
      - .offset:         0
        .size:           4
        .value_kind:     by_value
      - .offset:         4
        .size:           4
        .value_kind:     by_value
      - .offset:         8
        .size:           4
        .value_kind:     by_value
      - .offset:         12
        .size:           4
        .value_kind:     by_value
      - .address_space:  global
        .offset:         16
        .size:           8
        .value_kind:     global_buffer
      - .offset:         24
        .size:           8
        .value_kind:     by_value
      - .offset:         32
        .size:           8
        .value_kind:     by_value
      - .offset:         40
        .size:           8
        .value_kind:     by_value
      - .address_space:  global
        .offset:         48
        .size:           8
        .value_kind:     global_buffer
      - .offset:         56
        .size:           8
        .value_kind:     by_value
      - .offset:         64
        .size:           8
        .value_kind:     by_value
      - .offset:         72
        .size:           8
        .value_kind:     by_value
      - .offset:         80
        .size:           4
        .value_kind:     by_value
    .group_segment_fixed_size: 0
    .kernarg_segment_align: 8
    .kernarg_segment_size: 84
    .language:       OpenCL C
    .language_version:
      - 2
      - 0
    .max_flat_workgroup_size: 256
    .name:           _ZL27rocblas_geam_2matrix_deviceILi16ELi16EfPKPKfPKPfEv18rocblas_operation_iiT1_T2_lllT3_llli
    .private_segment_fixed_size: 0
    .sgpr_count:     24
    .sgpr_spill_count: 0
    .symbol:         _ZL27rocblas_geam_2matrix_deviceILi16ELi16EfPKPKfPKPfEv18rocblas_operation_iiT1_T2_lllT3_llli.kd
    .uniform_work_group_size: 1
    .uses_dynamic_stack: false
    .vgpr_count:     10
    .vgpr_spill_count: 0
    .wavefront_size: 64
  - .agpr_count:     0
    .args:
      - .offset:         0
        .size:           8
        .value_kind:     by_value
      - .offset:         8
        .size:           4
        .value_kind:     by_value
      - .address_space:  global
        .offset:         16
        .size:           8
        .value_kind:     global_buffer
      - .offset:         24
        .size:           8
        .value_kind:     by_value
      - .offset:         32
        .size:           8
        .value_kind:     by_value
      - .offset:         40
        .size:           4
        .value_kind:     by_value
      - .address_space:  global
        .offset:         48
        .size:           8
        .value_kind:     global_buffer
      - .offset:         56
        .size:           8
        .value_kind:     by_value
      - .offset:         64
        .size:           8
        .value_kind:     by_value
      - .address_space:  global
        .offset:         72
        .size:           8
        .value_kind:     global_buffer
      - .offset:         80
        .size:           8
        .value_kind:     by_value
      - .offset:         88
        .size:           8
        .value_kind:     by_value
      - .offset:         96
        .size:           4
        .value_kind:     by_value
      - .offset:         104
        .size:           4
        .value_kind:     hidden_block_count_x
      - .offset:         108
        .size:           4
        .value_kind:     hidden_block_count_y
      - .offset:         112
        .size:           4
        .value_kind:     hidden_block_count_z
      - .offset:         116
        .size:           2
        .value_kind:     hidden_group_size_x
      - .offset:         118
        .size:           2
        .value_kind:     hidden_group_size_y
      - .offset:         120
        .size:           2
        .value_kind:     hidden_group_size_z
      - .offset:         122
        .size:           2
        .value_kind:     hidden_remainder_x
      - .offset:         124
        .size:           2
        .value_kind:     hidden_remainder_y
      - .offset:         126
        .size:           2
        .value_kind:     hidden_remainder_z
      - .offset:         144
        .size:           8
        .value_kind:     hidden_global_offset_x
      - .offset:         152
        .size:           8
        .value_kind:     hidden_global_offset_y
      - .offset:         160
        .size:           8
        .value_kind:     hidden_global_offset_z
      - .offset:         168
        .size:           2
        .value_kind:     hidden_grid_dims
    .group_segment_fixed_size: 0
    .kernarg_segment_align: 8
    .kernarg_segment_size: 360
    .language:       OpenCL C
    .language_version:
      - 2
      - 0
    .max_flat_workgroup_size: 256
    .name:           _ZL22rocblas_geam_1D_deviceILi256EfPKPKfPKPfEvmT0_T1_llS7_S8_llT2_lli
    .private_segment_fixed_size: 0
    .sgpr_count:     28
    .sgpr_spill_count: 0
    .symbol:         _ZL22rocblas_geam_1D_deviceILi256EfPKPKfPKPfEvmT0_T1_llS7_S8_llT2_lli.kd
    .uniform_work_group_size: 1
    .uses_dynamic_stack: false
    .vgpr_count:     6
    .vgpr_spill_count: 0
    .wavefront_size: 64
  - .agpr_count:     0
    .args:
      - .offset:         0
        .size:           8
        .value_kind:     by_value
      - .address_space:  global
        .offset:         8
        .size:           8
        .value_kind:     global_buffer
      - .address_space:  global
        .offset:         16
        .size:           8
        .value_kind:     global_buffer
      - .offset:         24
        .size:           8
        .value_kind:     by_value
      - .offset:         32
        .size:           8
        .value_kind:     by_value
      - .address_space:  global
        .offset:         40
        .size:           8
        .value_kind:     global_buffer
      - .address_space:  global
        .offset:         48
        .size:           8
        .value_kind:     global_buffer
      - .offset:         56
        .size:           8
        .value_kind:     by_value
      - .offset:         64
        .size:           8
        .value_kind:     by_value
      - .address_space:  global
        .offset:         72
        .size:           8
        .value_kind:     global_buffer
      - .offset:         80
        .size:           8
        .value_kind:     by_value
      - .offset:         88
        .size:           8
        .value_kind:     by_value
      - .offset:         96
        .size:           4
        .value_kind:     by_value
      - .offset:         104
        .size:           4
        .value_kind:     hidden_block_count_x
      - .offset:         108
        .size:           4
        .value_kind:     hidden_block_count_y
      - .offset:         112
        .size:           4
        .value_kind:     hidden_block_count_z
      - .offset:         116
        .size:           2
        .value_kind:     hidden_group_size_x
      - .offset:         118
        .size:           2
        .value_kind:     hidden_group_size_y
      - .offset:         120
        .size:           2
        .value_kind:     hidden_group_size_z
      - .offset:         122
        .size:           2
        .value_kind:     hidden_remainder_x
      - .offset:         124
        .size:           2
        .value_kind:     hidden_remainder_y
      - .offset:         126
        .size:           2
        .value_kind:     hidden_remainder_z
      - .offset:         144
        .size:           8
        .value_kind:     hidden_global_offset_x
      - .offset:         152
        .size:           8
        .value_kind:     hidden_global_offset_y
      - .offset:         160
        .size:           8
        .value_kind:     hidden_global_offset_z
      - .offset:         168
        .size:           2
        .value_kind:     hidden_grid_dims
    .group_segment_fixed_size: 0
    .kernarg_segment_align: 8
    .kernarg_segment_size: 360
    .language:       OpenCL C
    .language_version:
      - 2
      - 0
    .max_flat_workgroup_size: 256
    .name:           _ZL22rocblas_geam_1D_deviceILi256EPKfPKS1_PKPfEvmT0_T1_llS7_S8_llT2_lli
    .private_segment_fixed_size: 0
    .sgpr_count:     28
    .sgpr_spill_count: 0
    .symbol:         _ZL22rocblas_geam_1D_deviceILi256EPKfPKS1_PKPfEvmT0_T1_llS7_S8_llT2_lli.kd
    .uniform_work_group_size: 1
    .uses_dynamic_stack: false
    .vgpr_count:     6
    .vgpr_spill_count: 0
    .wavefront_size: 64
  - .agpr_count:     0
    .args:
      - .offset:         0
        .size:           4
        .value_kind:     by_value
      - .offset:         4
        .size:           4
        .value_kind:     by_value
      - .offset:         8
        .size:           4
        .value_kind:     by_value
      - .offset:         12
        .size:           4
        .value_kind:     by_value
      - .offset:         16
        .size:           4
        .value_kind:     by_value
      - .address_space:  global
        .offset:         24
        .size:           8
        .value_kind:     global_buffer
      - .offset:         32
        .size:           8
        .value_kind:     by_value
      - .offset:         40
        .size:           8
        .value_kind:     by_value
      - .offset:         48
        .size:           8
        .value_kind:     by_value
      - .offset:         56
        .size:           4
        .value_kind:     by_value
      - .address_space:  global
        .offset:         64
        .size:           8
        .value_kind:     global_buffer
      - .offset:         72
        .size:           8
        .value_kind:     by_value
      - .offset:         80
        .size:           8
        .value_kind:     by_value
      - .offset:         88
        .size:           8
        .value_kind:     by_value
      - .address_space:  global
        .offset:         96
        .size:           8
        .value_kind:     global_buffer
      - .offset:         104
        .size:           8
        .value_kind:     by_value
      - .offset:         112
        .size:           8
        .value_kind:     by_value
      - .offset:         120
        .size:           8
        .value_kind:     by_value
      - .offset:         128
        .size:           4
        .value_kind:     by_value
    .group_segment_fixed_size: 0
    .kernarg_segment_align: 8
    .kernarg_segment_size: 132
    .language:       OpenCL C
    .language_version:
      - 2
      - 0
    .max_flat_workgroup_size: 256
    .name:           _ZL19rocblas_geam_deviceILi16ELi16EfPKPKfPKPfEv18rocblas_operation_S7_iiT1_T2_lllS8_S9_lllT3_llli
    .private_segment_fixed_size: 0
    .sgpr_count:     30
    .sgpr_spill_count: 0
    .symbol:         _ZL19rocblas_geam_deviceILi16ELi16EfPKPKfPKPfEv18rocblas_operation_S7_iiT1_T2_lllS8_S9_lllT3_llli.kd
    .uniform_work_group_size: 1
    .uses_dynamic_stack: false
    .vgpr_count:     9
    .vgpr_spill_count: 0
    .wavefront_size: 64
  - .agpr_count:     0
    .args:
      - .offset:         0
        .size:           4
        .value_kind:     by_value
      - .offset:         4
        .size:           4
        .value_kind:     by_value
      - .offset:         8
        .size:           4
        .value_kind:     by_value
      - .offset:         12
        .size:           4
        .value_kind:     by_value
      - .address_space:  global
        .offset:         16
        .size:           8
        .value_kind:     global_buffer
      - .address_space:  global
        .offset:         24
        .size:           8
        .value_kind:     global_buffer
      - .offset:         32
        .size:           8
        .value_kind:     by_value
      - .offset:         40
        .size:           8
        .value_kind:     by_value
      - .offset:         48
        .size:           8
        .value_kind:     by_value
      - .address_space:  global
        .offset:         56
        .size:           8
        .value_kind:     global_buffer
      - .address_space:  global
        .offset:         64
        .size:           8
        .value_kind:     global_buffer
      - .offset:         72
        .size:           8
        .value_kind:     by_value
      - .offset:         80
        .size:           8
        .value_kind:     by_value
      - .offset:         88
        .size:           8
        .value_kind:     by_value
      - .address_space:  global
        .offset:         96
        .size:           8
        .value_kind:     global_buffer
      - .offset:         104
        .size:           8
        .value_kind:     by_value
      - .offset:         112
        .size:           8
        .value_kind:     by_value
      - .offset:         120
        .size:           8
        .value_kind:     by_value
      - .offset:         128
        .size:           4
        .value_kind:     by_value
    .group_segment_fixed_size: 0
    .kernarg_segment_align: 8
    .kernarg_segment_size: 132
    .language:       OpenCL C
    .language_version:
      - 2
      - 0
    .max_flat_workgroup_size: 256
    .name:           _ZL19rocblas_geam_deviceILi16ELi16EPKfPKS1_PKPfEv18rocblas_operation_S7_iiT1_T2_lllS8_S9_lllT3_llli
    .private_segment_fixed_size: 0
    .sgpr_count:     34
    .sgpr_spill_count: 0
    .symbol:         _ZL19rocblas_geam_deviceILi16ELi16EPKfPKS1_PKPfEv18rocblas_operation_S7_iiT1_T2_lllS8_S9_lllT3_llli.kd
    .uniform_work_group_size: 1
    .uses_dynamic_stack: false
    .vgpr_count:     9
    .vgpr_spill_count: 0
    .wavefront_size: 64
  - .agpr_count:     0
    .args:
      - .offset:         0
        .size:           4
        .value_kind:     by_value
      - .offset:         4
        .size:           4
        .value_kind:     by_value
      - .address_space:  global
        .offset:         8
        .size:           8
        .value_kind:     global_buffer
      - .offset:         16
        .size:           8
        .value_kind:     by_value
      - .offset:         24
        .size:           8
        .value_kind:     by_value
      - .offset:         32
        .size:           8
        .value_kind:     by_value
      - .offset:         40
        .size:           4
        .value_kind:     by_value
    .group_segment_fixed_size: 0
    .kernarg_segment_align: 8
    .kernarg_segment_size: 44
    .language:       OpenCL C
    .language_version:
      - 2
      - 0
    .max_flat_workgroup_size: 256
    .name:           _ZL31rocblas_geam_zero_matrix_deviceILi16ELi16EPKPdEviiT1_llli
    .private_segment_fixed_size: 0
    .sgpr_count:     16
    .sgpr_spill_count: 0
    .symbol:         _ZL31rocblas_geam_zero_matrix_deviceILi16ELi16EPKPdEviiT1_llli.kd
    .uniform_work_group_size: 1
    .uses_dynamic_stack: false
    .vgpr_count:     6
    .vgpr_spill_count: 0
    .wavefront_size: 64
  - .agpr_count:     0
    .args:
      - .offset:         0
        .size:           4
        .value_kind:     by_value
      - .offset:         4
        .size:           4
        .value_kind:     by_value
      - .offset:         8
        .size:           4
        .value_kind:     by_value
      - .offset:         16
        .size:           8
        .value_kind:     by_value
      - .offset:         24
        .size:           8
        .value_kind:     by_value
      - .address_space:  global
        .offset:         32
        .size:           8
        .value_kind:     global_buffer
      - .offset:         40
        .size:           8
        .value_kind:     by_value
      - .offset:         48
        .size:           8
        .value_kind:     by_value
      - .offset:         56
        .size:           8
        .value_kind:     by_value
      - .address_space:  global
        .offset:         64
        .size:           8
        .value_kind:     global_buffer
      - .offset:         72
        .size:           8
        .value_kind:     by_value
      - .offset:         80
        .size:           8
        .value_kind:     by_value
      - .offset:         88
        .size:           8
        .value_kind:     by_value
      - .offset:         96
        .size:           4
        .value_kind:     by_value
    .group_segment_fixed_size: 0
    .kernarg_segment_align: 8
    .kernarg_segment_size: 100
    .language:       OpenCL C
    .language_version:
      - 2
      - 0
    .max_flat_workgroup_size: 256
    .name:           _ZL27rocblas_geam_inplace_deviceILi16ELi16EdPKPKdPKPdEv18rocblas_operation_iiT1_S8_T2_lllT3_llli
    .private_segment_fixed_size: 0
    .sgpr_count:     28
    .sgpr_spill_count: 0
    .symbol:         _ZL27rocblas_geam_inplace_deviceILi16ELi16EdPKPKdPKPdEv18rocblas_operation_iiT1_S8_T2_lllT3_llli.kd
    .uniform_work_group_size: 1
    .uses_dynamic_stack: false
    .vgpr_count:     9
    .vgpr_spill_count: 0
    .wavefront_size: 64
  - .agpr_count:     0
    .args:
      - .offset:         0
        .size:           4
        .value_kind:     by_value
      - .offset:         4
        .size:           4
        .value_kind:     by_value
      - .offset:         8
        .size:           4
        .value_kind:     by_value
      - .address_space:  global
        .offset:         16
        .size:           8
        .value_kind:     global_buffer
      - .address_space:  global
        .offset:         24
        .size:           8
        .value_kind:     global_buffer
      - .address_space:  global
        .offset:         32
        .size:           8
        .value_kind:     global_buffer
      - .offset:         40
        .size:           8
        .value_kind:     by_value
      - .offset:         48
        .size:           8
        .value_kind:     by_value
      - .offset:         56
        .size:           8
        .value_kind:     by_value
      - .address_space:  global
        .offset:         64
        .size:           8
        .value_kind:     global_buffer
      - .offset:         72
        .size:           8
        .value_kind:     by_value
      - .offset:         80
        .size:           8
        .value_kind:     by_value
      - .offset:         88
        .size:           8
        .value_kind:     by_value
      - .offset:         96
        .size:           4
        .value_kind:     by_value
    .group_segment_fixed_size: 0
    .kernarg_segment_align: 8
    .kernarg_segment_size: 100
    .language:       OpenCL C
    .language_version:
      - 2
      - 0
    .max_flat_workgroup_size: 256
    .name:           _ZL27rocblas_geam_inplace_deviceILi16ELi16EPKdPKS1_PKPdEv18rocblas_operation_iiT1_S8_T2_lllT3_llli
    .private_segment_fixed_size: 0
    .sgpr_count:     28
    .sgpr_spill_count: 0
    .symbol:         _ZL27rocblas_geam_inplace_deviceILi16ELi16EPKdPKS1_PKPdEv18rocblas_operation_iiT1_S8_T2_lllT3_llli.kd
    .uniform_work_group_size: 1
    .uses_dynamic_stack: false
    .vgpr_count:     9
    .vgpr_spill_count: 0
    .wavefront_size: 64
  - .agpr_count:     0
    .args:
      - .offset:         0
        .size:           8
        .value_kind:     by_value
      - .offset:         8
        .size:           8
        .value_kind:     by_value
      - .address_space:  global
        .offset:         16
        .size:           8
        .value_kind:     global_buffer
      - .offset:         24
        .size:           8
        .value_kind:     by_value
      - .offset:         32
        .size:           8
        .value_kind:     by_value
      - .address_space:  global
        .offset:         40
        .size:           8
        .value_kind:     global_buffer
      - .offset:         48
        .size:           8
        .value_kind:     by_value
      - .offset:         56
        .size:           8
        .value_kind:     by_value
      - .offset:         64
        .size:           4
        .value_kind:     by_value
      - .offset:         72
        .size:           4
        .value_kind:     hidden_block_count_x
      - .offset:         76
        .size:           4
        .value_kind:     hidden_block_count_y
      - .offset:         80
        .size:           4
        .value_kind:     hidden_block_count_z
      - .offset:         84
        .size:           2
        .value_kind:     hidden_group_size_x
      - .offset:         86
        .size:           2
        .value_kind:     hidden_group_size_y
      - .offset:         88
        .size:           2
        .value_kind:     hidden_group_size_z
      - .offset:         90
        .size:           2
        .value_kind:     hidden_remainder_x
      - .offset:         92
        .size:           2
        .value_kind:     hidden_remainder_y
      - .offset:         94
        .size:           2
        .value_kind:     hidden_remainder_z
      - .offset:         112
        .size:           8
        .value_kind:     hidden_global_offset_x
      - .offset:         120
        .size:           8
        .value_kind:     hidden_global_offset_y
      - .offset:         128
        .size:           8
        .value_kind:     hidden_global_offset_z
      - .offset:         136
        .size:           2
        .value_kind:     hidden_grid_dims
    .group_segment_fixed_size: 0
    .kernarg_segment_align: 8
    .kernarg_segment_size: 328
    .language:       OpenCL C
    .language_version:
      - 2
      - 0
    .max_flat_workgroup_size: 256
    .name:           _ZL30rocblas_geam_1D_2matrix_deviceILi256EdPKPKdPKPdEvmT0_T1_llT2_lli
    .private_segment_fixed_size: 0
    .sgpr_count:     22
    .sgpr_spill_count: 0
    .symbol:         _ZL30rocblas_geam_1D_2matrix_deviceILi256EdPKPKdPKPdEvmT0_T1_llT2_lli.kd
    .uniform_work_group_size: 1
    .uses_dynamic_stack: false
    .vgpr_count:     5
    .vgpr_spill_count: 0
    .wavefront_size: 64
  - .agpr_count:     0
    .args:
      - .offset:         0
        .size:           4
        .value_kind:     by_value
      - .offset:         4
        .size:           4
        .value_kind:     by_value
      - .offset:         8
        .size:           4
        .value_kind:     by_value
      - .offset:         16
        .size:           8
        .value_kind:     by_value
      - .address_space:  global
        .offset:         24
        .size:           8
        .value_kind:     global_buffer
      - .offset:         32
        .size:           8
        .value_kind:     by_value
      - .offset:         40
        .size:           8
        .value_kind:     by_value
      - .offset:         48
        .size:           8
        .value_kind:     by_value
      - .address_space:  global
        .offset:         56
        .size:           8
        .value_kind:     global_buffer
      - .offset:         64
        .size:           8
        .value_kind:     by_value
      - .offset:         72
        .size:           8
        .value_kind:     by_value
      - .offset:         80
        .size:           8
        .value_kind:     by_value
      - .offset:         88
        .size:           4
        .value_kind:     by_value
    .group_segment_fixed_size: 0
    .kernarg_segment_align: 8
    .kernarg_segment_size: 92
    .language:       OpenCL C
    .language_version:
      - 2
      - 0
    .max_flat_workgroup_size: 256
    .name:           _ZL27rocblas_geam_2matrix_deviceILi16ELi16EdPKPKdPKPdEv18rocblas_operation_iiT1_T2_lllT3_llli
    .private_segment_fixed_size: 0
    .sgpr_count:     26
    .sgpr_spill_count: 0
    .symbol:         _ZL27rocblas_geam_2matrix_deviceILi16ELi16EdPKPKdPKPdEv18rocblas_operation_iiT1_T2_lllT3_llli.kd
    .uniform_work_group_size: 1
    .uses_dynamic_stack: false
    .vgpr_count:     10
    .vgpr_spill_count: 0
    .wavefront_size: 64
  - .agpr_count:     0
    .args:
      - .offset:         0
        .size:           8
        .value_kind:     by_value
      - .offset:         8
        .size:           8
        .value_kind:     by_value
      - .address_space:  global
        .offset:         16
        .size:           8
        .value_kind:     global_buffer
      - .offset:         24
        .size:           8
        .value_kind:     by_value
      - .offset:         32
        .size:           8
        .value_kind:     by_value
      - .offset:         40
        .size:           8
        .value_kind:     by_value
      - .address_space:  global
        .offset:         48
        .size:           8
        .value_kind:     global_buffer
      - .offset:         56
        .size:           8
        .value_kind:     by_value
      - .offset:         64
        .size:           8
        .value_kind:     by_value
      - .address_space:  global
        .offset:         72
        .size:           8
        .value_kind:     global_buffer
      - .offset:         80
        .size:           8
        .value_kind:     by_value
      - .offset:         88
        .size:           8
        .value_kind:     by_value
      - .offset:         96
        .size:           4
        .value_kind:     by_value
      - .offset:         104
        .size:           4
        .value_kind:     hidden_block_count_x
      - .offset:         108
        .size:           4
        .value_kind:     hidden_block_count_y
      - .offset:         112
        .size:           4
        .value_kind:     hidden_block_count_z
      - .offset:         116
        .size:           2
        .value_kind:     hidden_group_size_x
      - .offset:         118
        .size:           2
        .value_kind:     hidden_group_size_y
      - .offset:         120
        .size:           2
        .value_kind:     hidden_group_size_z
      - .offset:         122
        .size:           2
        .value_kind:     hidden_remainder_x
      - .offset:         124
        .size:           2
        .value_kind:     hidden_remainder_y
      - .offset:         126
        .size:           2
        .value_kind:     hidden_remainder_z
      - .offset:         144
        .size:           8
        .value_kind:     hidden_global_offset_x
      - .offset:         152
        .size:           8
        .value_kind:     hidden_global_offset_y
      - .offset:         160
        .size:           8
        .value_kind:     hidden_global_offset_z
      - .offset:         168
        .size:           2
        .value_kind:     hidden_grid_dims
    .group_segment_fixed_size: 0
    .kernarg_segment_align: 8
    .kernarg_segment_size: 360
    .language:       OpenCL C
    .language_version:
      - 2
      - 0
    .max_flat_workgroup_size: 256
    .name:           _ZL22rocblas_geam_1D_deviceILi256EdPKPKdPKPdEvmT0_T1_llS7_S8_llT2_lli
    .private_segment_fixed_size: 0
    .sgpr_count:     30
    .sgpr_spill_count: 0
    .symbol:         _ZL22rocblas_geam_1D_deviceILi256EdPKPKdPKPdEvmT0_T1_llS7_S8_llT2_lli.kd
    .uniform_work_group_size: 1
    .uses_dynamic_stack: false
    .vgpr_count:     7
    .vgpr_spill_count: 0
    .wavefront_size: 64
  - .agpr_count:     0
    .args:
      - .offset:         0
        .size:           8
        .value_kind:     by_value
      - .address_space:  global
        .offset:         8
        .size:           8
        .value_kind:     global_buffer
      - .address_space:  global
        .offset:         16
        .size:           8
        .value_kind:     global_buffer
      - .offset:         24
        .size:           8
        .value_kind:     by_value
      - .offset:         32
        .size:           8
        .value_kind:     by_value
      - .address_space:  global
        .offset:         40
        .size:           8
        .value_kind:     global_buffer
      - .address_space:  global
        .offset:         48
        .size:           8
        .value_kind:     global_buffer
      - .offset:         56
        .size:           8
        .value_kind:     by_value
      - .offset:         64
        .size:           8
        .value_kind:     by_value
      - .address_space:  global
        .offset:         72
        .size:           8
        .value_kind:     global_buffer
      - .offset:         80
        .size:           8
        .value_kind:     by_value
      - .offset:         88
        .size:           8
        .value_kind:     by_value
      - .offset:         96
        .size:           4
        .value_kind:     by_value
      - .offset:         104
        .size:           4
        .value_kind:     hidden_block_count_x
      - .offset:         108
        .size:           4
        .value_kind:     hidden_block_count_y
      - .offset:         112
        .size:           4
        .value_kind:     hidden_block_count_z
      - .offset:         116
        .size:           2
        .value_kind:     hidden_group_size_x
      - .offset:         118
        .size:           2
        .value_kind:     hidden_group_size_y
      - .offset:         120
        .size:           2
        .value_kind:     hidden_group_size_z
      - .offset:         122
        .size:           2
        .value_kind:     hidden_remainder_x
      - .offset:         124
        .size:           2
        .value_kind:     hidden_remainder_y
      - .offset:         126
        .size:           2
        .value_kind:     hidden_remainder_z
      - .offset:         144
        .size:           8
        .value_kind:     hidden_global_offset_x
      - .offset:         152
        .size:           8
        .value_kind:     hidden_global_offset_y
      - .offset:         160
        .size:           8
        .value_kind:     hidden_global_offset_z
      - .offset:         168
        .size:           2
        .value_kind:     hidden_grid_dims
    .group_segment_fixed_size: 0
    .kernarg_segment_align: 8
    .kernarg_segment_size: 360
    .language:       OpenCL C
    .language_version:
      - 2
      - 0
    .max_flat_workgroup_size: 256
    .name:           _ZL22rocblas_geam_1D_deviceILi256EPKdPKS1_PKPdEvmT0_T1_llS7_S8_llT2_lli
    .private_segment_fixed_size: 0
    .sgpr_count:     30
    .sgpr_spill_count: 0
    .symbol:         _ZL22rocblas_geam_1D_deviceILi256EPKdPKS1_PKPdEvmT0_T1_llS7_S8_llT2_lli.kd
    .uniform_work_group_size: 1
    .uses_dynamic_stack: false
    .vgpr_count:     7
    .vgpr_spill_count: 0
    .wavefront_size: 64
  - .agpr_count:     0
    .args:
      - .offset:         0
        .size:           4
        .value_kind:     by_value
      - .offset:         4
        .size:           4
        .value_kind:     by_value
      - .offset:         8
        .size:           4
        .value_kind:     by_value
      - .offset:         12
        .size:           4
        .value_kind:     by_value
      - .offset:         16
        .size:           8
        .value_kind:     by_value
      - .address_space:  global
        .offset:         24
        .size:           8
        .value_kind:     global_buffer
      - .offset:         32
        .size:           8
        .value_kind:     by_value
      - .offset:         40
        .size:           8
        .value_kind:     by_value
      - .offset:         48
        .size:           8
        .value_kind:     by_value
      - .offset:         56
        .size:           8
        .value_kind:     by_value
      - .address_space:  global
        .offset:         64
        .size:           8
        .value_kind:     global_buffer
      - .offset:         72
        .size:           8
        .value_kind:     by_value
      - .offset:         80
        .size:           8
        .value_kind:     by_value
      - .offset:         88
        .size:           8
        .value_kind:     by_value
      - .address_space:  global
        .offset:         96
        .size:           8
        .value_kind:     global_buffer
      - .offset:         104
        .size:           8
        .value_kind:     by_value
      - .offset:         112
        .size:           8
        .value_kind:     by_value
      - .offset:         120
        .size:           8
        .value_kind:     by_value
      - .offset:         128
        .size:           4
        .value_kind:     by_value
    .group_segment_fixed_size: 0
    .kernarg_segment_align: 8
    .kernarg_segment_size: 132
    .language:       OpenCL C
    .language_version:
      - 2
      - 0
    .max_flat_workgroup_size: 256
    .name:           _ZL19rocblas_geam_deviceILi16ELi16EdPKPKdPKPdEv18rocblas_operation_S7_iiT1_T2_lllS8_S9_lllT3_llli
    .private_segment_fixed_size: 0
    .sgpr_count:     36
    .sgpr_spill_count: 0
    .symbol:         _ZL19rocblas_geam_deviceILi16ELi16EdPKPKdPKPdEv18rocblas_operation_S7_iiT1_T2_lllS8_S9_lllT3_llli.kd
    .uniform_work_group_size: 1
    .uses_dynamic_stack: false
    .vgpr_count:     10
    .vgpr_spill_count: 0
    .wavefront_size: 64
  - .agpr_count:     0
    .args:
      - .offset:         0
        .size:           4
        .value_kind:     by_value
      - .offset:         4
        .size:           4
        .value_kind:     by_value
      - .offset:         8
        .size:           4
        .value_kind:     by_value
      - .offset:         12
        .size:           4
        .value_kind:     by_value
      - .address_space:  global
        .offset:         16
        .size:           8
        .value_kind:     global_buffer
      - .address_space:  global
        .offset:         24
        .size:           8
        .value_kind:     global_buffer
      - .offset:         32
        .size:           8
        .value_kind:     by_value
      - .offset:         40
        .size:           8
        .value_kind:     by_value
      - .offset:         48
        .size:           8
        .value_kind:     by_value
      - .address_space:  global
        .offset:         56
        .size:           8
        .value_kind:     global_buffer
      - .address_space:  global
        .offset:         64
        .size:           8
        .value_kind:     global_buffer
      - .offset:         72
        .size:           8
        .value_kind:     by_value
      - .offset:         80
        .size:           8
        .value_kind:     by_value
      - .offset:         88
        .size:           8
        .value_kind:     by_value
      - .address_space:  global
        .offset:         96
        .size:           8
        .value_kind:     global_buffer
      - .offset:         104
        .size:           8
        .value_kind:     by_value
      - .offset:         112
        .size:           8
        .value_kind:     by_value
      - .offset:         120
        .size:           8
        .value_kind:     by_value
      - .offset:         128
        .size:           4
        .value_kind:     by_value
    .group_segment_fixed_size: 0
    .kernarg_segment_align: 8
    .kernarg_segment_size: 132
    .language:       OpenCL C
    .language_version:
      - 2
      - 0
    .max_flat_workgroup_size: 256
    .name:           _ZL19rocblas_geam_deviceILi16ELi16EPKdPKS1_PKPdEv18rocblas_operation_S7_iiT1_T2_lllS8_S9_lllT3_llli
    .private_segment_fixed_size: 0
    .sgpr_count:     34
    .sgpr_spill_count: 0
    .symbol:         _ZL19rocblas_geam_deviceILi16ELi16EPKdPKS1_PKPdEv18rocblas_operation_S7_iiT1_T2_lllS8_S9_lllT3_llli.kd
    .uniform_work_group_size: 1
    .uses_dynamic_stack: false
    .vgpr_count:     10
    .vgpr_spill_count: 0
    .wavefront_size: 64
  - .agpr_count:     0
    .args:
      - .offset:         0
        .size:           4
        .value_kind:     by_value
      - .offset:         4
        .size:           4
        .value_kind:     by_value
      - .address_space:  global
        .offset:         8
        .size:           8
        .value_kind:     global_buffer
      - .offset:         16
        .size:           8
        .value_kind:     by_value
      - .offset:         24
        .size:           8
        .value_kind:     by_value
      - .offset:         32
        .size:           8
        .value_kind:     by_value
      - .offset:         40
        .size:           4
        .value_kind:     by_value
    .group_segment_fixed_size: 0
    .kernarg_segment_align: 8
    .kernarg_segment_size: 44
    .language:       OpenCL C
    .language_version:
      - 2
      - 0
    .max_flat_workgroup_size: 256
    .name:           _ZL31rocblas_geam_zero_matrix_deviceILi16ELi16EPKP19rocblas_complex_numIfEEviiT1_llli
    .private_segment_fixed_size: 0
    .sgpr_count:     16
    .sgpr_spill_count: 0
    .symbol:         _ZL31rocblas_geam_zero_matrix_deviceILi16ELi16EPKP19rocblas_complex_numIfEEviiT1_llli.kd
    .uniform_work_group_size: 1
    .uses_dynamic_stack: false
    .vgpr_count:     6
    .vgpr_spill_count: 0
    .wavefront_size: 64
  - .agpr_count:     0
    .args:
      - .offset:         0
        .size:           4
        .value_kind:     by_value
      - .offset:         4
        .size:           4
        .value_kind:     by_value
      - .offset:         8
        .size:           4
        .value_kind:     by_value
      - .offset:         12
        .size:           8
        .value_kind:     by_value
      - .offset:         20
        .size:           8
        .value_kind:     by_value
      - .address_space:  global
        .offset:         32
        .size:           8
        .value_kind:     global_buffer
      - .offset:         40
        .size:           8
        .value_kind:     by_value
      - .offset:         48
        .size:           8
        .value_kind:     by_value
      - .offset:         56
        .size:           8
        .value_kind:     by_value
      - .address_space:  global
        .offset:         64
        .size:           8
        .value_kind:     global_buffer
      - .offset:         72
        .size:           8
        .value_kind:     by_value
      - .offset:         80
        .size:           8
        .value_kind:     by_value
      - .offset:         88
        .size:           8
        .value_kind:     by_value
      - .offset:         96
        .size:           4
        .value_kind:     by_value
    .group_segment_fixed_size: 0
    .kernarg_segment_align: 8
    .kernarg_segment_size: 100
    .language:       OpenCL C
    .language_version:
      - 2
      - 0
    .max_flat_workgroup_size: 256
    .name:           _ZL27rocblas_geam_inplace_deviceILi16ELi16E19rocblas_complex_numIfEPKPKS1_PKPS1_Ev18rocblas_operation_iiT1_SA_T2_lllT3_llli
    .private_segment_fixed_size: 0
    .sgpr_count:     24
    .sgpr_spill_count: 0
    .symbol:         _ZL27rocblas_geam_inplace_deviceILi16ELi16E19rocblas_complex_numIfEPKPKS1_PKPS1_Ev18rocblas_operation_iiT1_SA_T2_lllT3_llli.kd
    .uniform_work_group_size: 1
    .uses_dynamic_stack: false
    .vgpr_count:     10
    .vgpr_spill_count: 0
    .wavefront_size: 64
  - .agpr_count:     0
    .args:
      - .offset:         0
        .size:           4
        .value_kind:     by_value
      - .offset:         4
        .size:           4
        .value_kind:     by_value
      - .offset:         8
        .size:           4
        .value_kind:     by_value
      - .address_space:  global
        .offset:         16
        .size:           8
        .value_kind:     global_buffer
      - .address_space:  global
        .offset:         24
        .size:           8
        .value_kind:     global_buffer
      - .address_space:  global
        .offset:         32
        .size:           8
        .value_kind:     global_buffer
      - .offset:         40
        .size:           8
        .value_kind:     by_value
      - .offset:         48
        .size:           8
        .value_kind:     by_value
      - .offset:         56
        .size:           8
        .value_kind:     by_value
      - .address_space:  global
        .offset:         64
        .size:           8
        .value_kind:     global_buffer
      - .offset:         72
        .size:           8
        .value_kind:     by_value
      - .offset:         80
        .size:           8
        .value_kind:     by_value
      - .offset:         88
        .size:           8
        .value_kind:     by_value
      - .offset:         96
        .size:           4
        .value_kind:     by_value
    .group_segment_fixed_size: 0
    .kernarg_segment_align: 8
    .kernarg_segment_size: 100
    .language:       OpenCL C
    .language_version:
      - 2
      - 0
    .max_flat_workgroup_size: 256
    .name:           _ZL27rocblas_geam_inplace_deviceILi16ELi16EPK19rocblas_complex_numIfEPKS3_PKPS1_Ev18rocblas_operation_iiT1_SA_T2_lllT3_llli
    .private_segment_fixed_size: 0
    .sgpr_count:     28
    .sgpr_spill_count: 0
    .symbol:         _ZL27rocblas_geam_inplace_deviceILi16ELi16EPK19rocblas_complex_numIfEPKS3_PKPS1_Ev18rocblas_operation_iiT1_SA_T2_lllT3_llli.kd
    .uniform_work_group_size: 1
    .uses_dynamic_stack: false
    .vgpr_count:     10
    .vgpr_spill_count: 0
    .wavefront_size: 64
  - .agpr_count:     0
    .args:
      - .offset:         0
        .size:           8
        .value_kind:     by_value
      - .offset:         8
        .size:           8
        .value_kind:     by_value
      - .address_space:  global
        .offset:         16
        .size:           8
        .value_kind:     global_buffer
      - .offset:         24
        .size:           8
        .value_kind:     by_value
      - .offset:         32
        .size:           8
        .value_kind:     by_value
      - .address_space:  global
        .offset:         40
        .size:           8
        .value_kind:     global_buffer
      - .offset:         48
        .size:           8
        .value_kind:     by_value
      - .offset:         56
        .size:           8
        .value_kind:     by_value
      - .offset:         64
        .size:           4
        .value_kind:     by_value
      - .offset:         72
        .size:           4
        .value_kind:     hidden_block_count_x
      - .offset:         76
        .size:           4
        .value_kind:     hidden_block_count_y
      - .offset:         80
        .size:           4
        .value_kind:     hidden_block_count_z
      - .offset:         84
        .size:           2
        .value_kind:     hidden_group_size_x
      - .offset:         86
        .size:           2
        .value_kind:     hidden_group_size_y
      - .offset:         88
        .size:           2
        .value_kind:     hidden_group_size_z
      - .offset:         90
        .size:           2
        .value_kind:     hidden_remainder_x
      - .offset:         92
        .size:           2
        .value_kind:     hidden_remainder_y
      - .offset:         94
        .size:           2
        .value_kind:     hidden_remainder_z
      - .offset:         112
        .size:           8
        .value_kind:     hidden_global_offset_x
      - .offset:         120
        .size:           8
        .value_kind:     hidden_global_offset_y
      - .offset:         128
        .size:           8
        .value_kind:     hidden_global_offset_z
      - .offset:         136
        .size:           2
        .value_kind:     hidden_grid_dims
    .group_segment_fixed_size: 0
    .kernarg_segment_align: 8
    .kernarg_segment_size: 328
    .language:       OpenCL C
    .language_version:
      - 2
      - 0
    .max_flat_workgroup_size: 256
    .name:           _ZL30rocblas_geam_1D_2matrix_deviceILi256E19rocblas_complex_numIfEPKPKS1_PKPS1_EvmT0_T1_llT2_lli
    .private_segment_fixed_size: 0
    .sgpr_count:     16
    .sgpr_spill_count: 0
    .symbol:         _ZL30rocblas_geam_1D_2matrix_deviceILi256E19rocblas_complex_numIfEPKPKS1_PKPS1_EvmT0_T1_llT2_lli.kd
    .uniform_work_group_size: 1
    .uses_dynamic_stack: false
    .vgpr_count:     8
    .vgpr_spill_count: 0
    .wavefront_size: 64
  - .agpr_count:     0
    .args:
      - .offset:         0
        .size:           4
        .value_kind:     by_value
      - .offset:         4
        .size:           4
        .value_kind:     by_value
      - .offset:         8
        .size:           4
        .value_kind:     by_value
      - .offset:         12
        .size:           8
        .value_kind:     by_value
      - .address_space:  global
        .offset:         24
        .size:           8
        .value_kind:     global_buffer
      - .offset:         32
        .size:           8
        .value_kind:     by_value
      - .offset:         40
        .size:           8
        .value_kind:     by_value
      - .offset:         48
        .size:           8
        .value_kind:     by_value
      - .address_space:  global
        .offset:         56
        .size:           8
        .value_kind:     global_buffer
      - .offset:         64
        .size:           8
        .value_kind:     by_value
      - .offset:         72
        .size:           8
        .value_kind:     by_value
      - .offset:         80
        .size:           8
        .value_kind:     by_value
      - .offset:         88
        .size:           4
        .value_kind:     by_value
    .group_segment_fixed_size: 0
    .kernarg_segment_align: 8
    .kernarg_segment_size: 92
    .language:       OpenCL C
    .language_version:
      - 2
      - 0
    .max_flat_workgroup_size: 256
    .name:           _ZL27rocblas_geam_2matrix_deviceILi16ELi16E19rocblas_complex_numIfEPKPKS1_PKPS1_Ev18rocblas_operation_iiT1_T2_lllT3_llli
    .private_segment_fixed_size: 0
    .sgpr_count:     20
    .sgpr_spill_count: 0
    .symbol:         _ZL27rocblas_geam_2matrix_deviceILi16ELi16E19rocblas_complex_numIfEPKPKS1_PKPS1_Ev18rocblas_operation_iiT1_T2_lllT3_llli.kd
    .uniform_work_group_size: 1
    .uses_dynamic_stack: false
    .vgpr_count:     10
    .vgpr_spill_count: 0
    .wavefront_size: 64
  - .agpr_count:     0
    .args:
      - .offset:         0
        .size:           8
        .value_kind:     by_value
      - .offset:         8
        .size:           8
        .value_kind:     by_value
      - .address_space:  global
        .offset:         16
        .size:           8
        .value_kind:     global_buffer
      - .offset:         24
        .size:           8
        .value_kind:     by_value
      - .offset:         32
        .size:           8
        .value_kind:     by_value
      - .offset:         40
        .size:           8
        .value_kind:     by_value
      - .address_space:  global
        .offset:         48
        .size:           8
        .value_kind:     global_buffer
      - .offset:         56
        .size:           8
        .value_kind:     by_value
      - .offset:         64
        .size:           8
        .value_kind:     by_value
      - .address_space:  global
        .offset:         72
        .size:           8
        .value_kind:     global_buffer
      - .offset:         80
        .size:           8
        .value_kind:     by_value
      - .offset:         88
        .size:           8
        .value_kind:     by_value
      - .offset:         96
        .size:           4
        .value_kind:     by_value
      - .offset:         104
        .size:           4
        .value_kind:     hidden_block_count_x
      - .offset:         108
        .size:           4
        .value_kind:     hidden_block_count_y
      - .offset:         112
        .size:           4
        .value_kind:     hidden_block_count_z
      - .offset:         116
        .size:           2
        .value_kind:     hidden_group_size_x
      - .offset:         118
        .size:           2
        .value_kind:     hidden_group_size_y
      - .offset:         120
        .size:           2
        .value_kind:     hidden_group_size_z
      - .offset:         122
        .size:           2
        .value_kind:     hidden_remainder_x
      - .offset:         124
        .size:           2
        .value_kind:     hidden_remainder_y
      - .offset:         126
        .size:           2
        .value_kind:     hidden_remainder_z
      - .offset:         144
        .size:           8
        .value_kind:     hidden_global_offset_x
      - .offset:         152
        .size:           8
        .value_kind:     hidden_global_offset_y
      - .offset:         160
        .size:           8
        .value_kind:     hidden_global_offset_z
      - .offset:         168
        .size:           2
        .value_kind:     hidden_grid_dims
    .group_segment_fixed_size: 0
    .kernarg_segment_align: 8
    .kernarg_segment_size: 360
    .language:       OpenCL C
    .language_version:
      - 2
      - 0
    .max_flat_workgroup_size: 256
    .name:           _ZL22rocblas_geam_1D_deviceILi256E19rocblas_complex_numIfEPKPKS1_PKPS1_EvmT0_T1_llS9_SA_llT2_lli
    .private_segment_fixed_size: 0
    .sgpr_count:     24
    .sgpr_spill_count: 0
    .symbol:         _ZL22rocblas_geam_1D_deviceILi256E19rocblas_complex_numIfEPKPKS1_PKPS1_EvmT0_T1_llS9_SA_llT2_lli.kd
    .uniform_work_group_size: 1
    .uses_dynamic_stack: false
    .vgpr_count:     10
    .vgpr_spill_count: 0
    .wavefront_size: 64
  - .agpr_count:     0
    .args:
      - .offset:         0
        .size:           8
        .value_kind:     by_value
      - .address_space:  global
        .offset:         8
        .size:           8
        .value_kind:     global_buffer
      - .address_space:  global
        .offset:         16
        .size:           8
        .value_kind:     global_buffer
      - .offset:         24
        .size:           8
        .value_kind:     by_value
      - .offset:         32
        .size:           8
        .value_kind:     by_value
      - .address_space:  global
        .offset:         40
        .size:           8
        .value_kind:     global_buffer
      - .address_space:  global
        .offset:         48
        .size:           8
        .value_kind:     global_buffer
      - .offset:         56
        .size:           8
        .value_kind:     by_value
      - .offset:         64
        .size:           8
        .value_kind:     by_value
      - .address_space:  global
        .offset:         72
        .size:           8
        .value_kind:     global_buffer
      - .offset:         80
        .size:           8
        .value_kind:     by_value
      - .offset:         88
        .size:           8
        .value_kind:     by_value
      - .offset:         96
        .size:           4
        .value_kind:     by_value
      - .offset:         104
        .size:           4
        .value_kind:     hidden_block_count_x
      - .offset:         108
        .size:           4
        .value_kind:     hidden_block_count_y
      - .offset:         112
        .size:           4
        .value_kind:     hidden_block_count_z
      - .offset:         116
        .size:           2
        .value_kind:     hidden_group_size_x
      - .offset:         118
        .size:           2
        .value_kind:     hidden_group_size_y
      - .offset:         120
        .size:           2
        .value_kind:     hidden_group_size_z
      - .offset:         122
        .size:           2
        .value_kind:     hidden_remainder_x
      - .offset:         124
        .size:           2
        .value_kind:     hidden_remainder_y
      - .offset:         126
        .size:           2
        .value_kind:     hidden_remainder_z
      - .offset:         144
        .size:           8
        .value_kind:     hidden_global_offset_x
      - .offset:         152
        .size:           8
        .value_kind:     hidden_global_offset_y
      - .offset:         160
        .size:           8
        .value_kind:     hidden_global_offset_z
      - .offset:         168
        .size:           2
        .value_kind:     hidden_grid_dims
    .group_segment_fixed_size: 0
    .kernarg_segment_align: 8
    .kernarg_segment_size: 360
    .language:       OpenCL C
    .language_version:
      - 2
      - 0
    .max_flat_workgroup_size: 256
    .name:           _ZL22rocblas_geam_1D_deviceILi256EPK19rocblas_complex_numIfEPKS3_PKPS1_EvmT0_T1_llS9_SA_llT2_lli
    .private_segment_fixed_size: 0
    .sgpr_count:     28
    .sgpr_spill_count: 0
    .symbol:         _ZL22rocblas_geam_1D_deviceILi256EPK19rocblas_complex_numIfEPKS3_PKPS1_EvmT0_T1_llS9_SA_llT2_lli.kd
    .uniform_work_group_size: 1
    .uses_dynamic_stack: false
    .vgpr_count:     10
    .vgpr_spill_count: 0
    .wavefront_size: 64
  - .agpr_count:     0
    .args:
      - .offset:         0
        .size:           4
        .value_kind:     by_value
      - .offset:         4
        .size:           4
        .value_kind:     by_value
      - .offset:         8
        .size:           4
        .value_kind:     by_value
      - .offset:         12
        .size:           4
        .value_kind:     by_value
      - .offset:         16
        .size:           8
        .value_kind:     by_value
      - .address_space:  global
        .offset:         24
        .size:           8
        .value_kind:     global_buffer
      - .offset:         32
        .size:           8
        .value_kind:     by_value
      - .offset:         40
        .size:           8
        .value_kind:     by_value
      - .offset:         48
        .size:           8
        .value_kind:     by_value
      - .offset:         56
        .size:           8
        .value_kind:     by_value
      - .address_space:  global
        .offset:         64
        .size:           8
        .value_kind:     global_buffer
      - .offset:         72
        .size:           8
        .value_kind:     by_value
      - .offset:         80
        .size:           8
        .value_kind:     by_value
      - .offset:         88
        .size:           8
        .value_kind:     by_value
      - .address_space:  global
        .offset:         96
        .size:           8
        .value_kind:     global_buffer
      - .offset:         104
        .size:           8
        .value_kind:     by_value
      - .offset:         112
        .size:           8
        .value_kind:     by_value
      - .offset:         120
        .size:           8
        .value_kind:     by_value
      - .offset:         128
        .size:           4
        .value_kind:     by_value
    .group_segment_fixed_size: 0
    .kernarg_segment_align: 8
    .kernarg_segment_size: 132
    .language:       OpenCL C
    .language_version:
      - 2
      - 0
    .max_flat_workgroup_size: 256
    .name:           _ZL19rocblas_geam_deviceILi16ELi16E19rocblas_complex_numIfEPKPKS1_PKPS1_Ev18rocblas_operation_S9_iiT1_T2_lllSA_SB_lllT3_llli
    .private_segment_fixed_size: 0
    .sgpr_count:     32
    .sgpr_spill_count: 0
    .symbol:         _ZL19rocblas_geam_deviceILi16ELi16E19rocblas_complex_numIfEPKPKS1_PKPS1_Ev18rocblas_operation_S9_iiT1_T2_lllSA_SB_lllT3_llli.kd
    .uniform_work_group_size: 1
    .uses_dynamic_stack: false
    .vgpr_count:     12
    .vgpr_spill_count: 0
    .wavefront_size: 64
  - .agpr_count:     0
    .args:
      - .offset:         0
        .size:           4
        .value_kind:     by_value
      - .offset:         4
        .size:           4
        .value_kind:     by_value
      - .offset:         8
        .size:           4
        .value_kind:     by_value
      - .offset:         12
        .size:           4
        .value_kind:     by_value
      - .address_space:  global
        .offset:         16
        .size:           8
        .value_kind:     global_buffer
      - .address_space:  global
        .offset:         24
        .size:           8
        .value_kind:     global_buffer
      - .offset:         32
        .size:           8
        .value_kind:     by_value
      - .offset:         40
        .size:           8
        .value_kind:     by_value
      - .offset:         48
        .size:           8
        .value_kind:     by_value
      - .address_space:  global
        .offset:         56
        .size:           8
        .value_kind:     global_buffer
      - .address_space:  global
        .offset:         64
        .size:           8
        .value_kind:     global_buffer
      - .offset:         72
        .size:           8
        .value_kind:     by_value
      - .offset:         80
        .size:           8
        .value_kind:     by_value
      - .offset:         88
        .size:           8
        .value_kind:     by_value
      - .address_space:  global
        .offset:         96
        .size:           8
        .value_kind:     global_buffer
      - .offset:         104
        .size:           8
        .value_kind:     by_value
      - .offset:         112
        .size:           8
        .value_kind:     by_value
      - .offset:         120
        .size:           8
        .value_kind:     by_value
      - .offset:         128
        .size:           4
        .value_kind:     by_value
    .group_segment_fixed_size: 0
    .kernarg_segment_align: 8
    .kernarg_segment_size: 132
    .language:       OpenCL C
    .language_version:
      - 2
      - 0
    .max_flat_workgroup_size: 256
    .name:           _ZL19rocblas_geam_deviceILi16ELi16EPK19rocblas_complex_numIfEPKS3_PKPS1_Ev18rocblas_operation_S9_iiT1_T2_lllSA_SB_lllT3_llli
    .private_segment_fixed_size: 0
    .sgpr_count:     34
    .sgpr_spill_count: 0
    .symbol:         _ZL19rocblas_geam_deviceILi16ELi16EPK19rocblas_complex_numIfEPKS3_PKPS1_Ev18rocblas_operation_S9_iiT1_T2_lllSA_SB_lllT3_llli.kd
    .uniform_work_group_size: 1
    .uses_dynamic_stack: false
    .vgpr_count:     12
    .vgpr_spill_count: 0
    .wavefront_size: 64
  - .agpr_count:     0
    .args:
      - .offset:         0
        .size:           4
        .value_kind:     by_value
      - .offset:         4
        .size:           4
        .value_kind:     by_value
      - .address_space:  global
        .offset:         8
        .size:           8
        .value_kind:     global_buffer
      - .offset:         16
        .size:           8
        .value_kind:     by_value
      - .offset:         24
        .size:           8
        .value_kind:     by_value
      - .offset:         32
        .size:           8
        .value_kind:     by_value
      - .offset:         40
        .size:           4
        .value_kind:     by_value
    .group_segment_fixed_size: 0
    .kernarg_segment_align: 8
    .kernarg_segment_size: 44
    .language:       OpenCL C
    .language_version:
      - 2
      - 0
    .max_flat_workgroup_size: 256
    .name:           _ZL31rocblas_geam_zero_matrix_deviceILi16ELi16EPKP19rocblas_complex_numIdEEviiT1_llli
    .private_segment_fixed_size: 0
    .sgpr_count:     16
    .sgpr_spill_count: 0
    .symbol:         _ZL31rocblas_geam_zero_matrix_deviceILi16ELi16EPKP19rocblas_complex_numIdEEviiT1_llli.kd
    .uniform_work_group_size: 1
    .uses_dynamic_stack: false
    .vgpr_count:     6
    .vgpr_spill_count: 0
    .wavefront_size: 64
  - .agpr_count:     0
    .args:
      - .offset:         0
        .size:           4
        .value_kind:     by_value
      - .offset:         4
        .size:           4
        .value_kind:     by_value
      - .offset:         8
        .size:           4
        .value_kind:     by_value
      - .offset:         16
        .size:           16
        .value_kind:     by_value
      - .offset:         32
        .size:           16
        .value_kind:     by_value
      - .address_space:  global
        .offset:         48
        .size:           8
        .value_kind:     global_buffer
      - .offset:         56
        .size:           8
        .value_kind:     by_value
      - .offset:         64
        .size:           8
        .value_kind:     by_value
      - .offset:         72
        .size:           8
        .value_kind:     by_value
      - .address_space:  global
        .offset:         80
        .size:           8
        .value_kind:     global_buffer
      - .offset:         88
        .size:           8
        .value_kind:     by_value
      - .offset:         96
        .size:           8
        .value_kind:     by_value
      - .offset:         104
        .size:           8
        .value_kind:     by_value
      - .offset:         112
        .size:           4
        .value_kind:     by_value
    .group_segment_fixed_size: 0
    .kernarg_segment_align: 8
    .kernarg_segment_size: 116
    .language:       OpenCL C
    .language_version:
      - 2
      - 0
    .max_flat_workgroup_size: 256
    .name:           _ZL27rocblas_geam_inplace_deviceILi16ELi16E19rocblas_complex_numIdEPKPKS1_PKPS1_Ev18rocblas_operation_iiT1_SA_T2_lllT3_llli
    .private_segment_fixed_size: 0
    .sgpr_count:     28
    .sgpr_spill_count: 0
    .symbol:         _ZL27rocblas_geam_inplace_deviceILi16ELi16E19rocblas_complex_numIdEPKPKS1_PKPS1_Ev18rocblas_operation_iiT1_SA_T2_lllT3_llli.kd
    .uniform_work_group_size: 1
    .uses_dynamic_stack: false
    .vgpr_count:     14
    .vgpr_spill_count: 0
    .wavefront_size: 64
  - .agpr_count:     0
    .args:
      - .offset:         0
        .size:           4
        .value_kind:     by_value
      - .offset:         4
        .size:           4
        .value_kind:     by_value
      - .offset:         8
        .size:           4
        .value_kind:     by_value
      - .address_space:  global
        .offset:         16
        .size:           8
        .value_kind:     global_buffer
      - .address_space:  global
        .offset:         24
        .size:           8
        .value_kind:     global_buffer
      - .address_space:  global
        .offset:         32
        .size:           8
        .value_kind:     global_buffer
      - .offset:         40
        .size:           8
        .value_kind:     by_value
      - .offset:         48
        .size:           8
        .value_kind:     by_value
      - .offset:         56
        .size:           8
        .value_kind:     by_value
      - .address_space:  global
        .offset:         64
        .size:           8
        .value_kind:     global_buffer
      - .offset:         72
        .size:           8
        .value_kind:     by_value
      - .offset:         80
        .size:           8
        .value_kind:     by_value
      - .offset:         88
        .size:           8
        .value_kind:     by_value
      - .offset:         96
        .size:           4
        .value_kind:     by_value
    .group_segment_fixed_size: 0
    .kernarg_segment_align: 8
    .kernarg_segment_size: 100
    .language:       OpenCL C
    .language_version:
      - 2
      - 0
    .max_flat_workgroup_size: 256
    .name:           _ZL27rocblas_geam_inplace_deviceILi16ELi16EPK19rocblas_complex_numIdEPKS3_PKPS1_Ev18rocblas_operation_iiT1_SA_T2_lllT3_llli
    .private_segment_fixed_size: 0
    .sgpr_count:     32
    .sgpr_spill_count: 0
    .symbol:         _ZL27rocblas_geam_inplace_deviceILi16ELi16EPK19rocblas_complex_numIdEPKS3_PKPS1_Ev18rocblas_operation_iiT1_SA_T2_lllT3_llli.kd
    .uniform_work_group_size: 1
    .uses_dynamic_stack: false
    .vgpr_count:     14
    .vgpr_spill_count: 0
    .wavefront_size: 64
  - .agpr_count:     0
    .args:
      - .offset:         0
        .size:           8
        .value_kind:     by_value
      - .offset:         8
        .size:           16
        .value_kind:     by_value
      - .address_space:  global
        .offset:         24
        .size:           8
        .value_kind:     global_buffer
      - .offset:         32
        .size:           8
        .value_kind:     by_value
      - .offset:         40
        .size:           8
        .value_kind:     by_value
      - .address_space:  global
        .offset:         48
        .size:           8
        .value_kind:     global_buffer
      - .offset:         56
        .size:           8
        .value_kind:     by_value
      - .offset:         64
        .size:           8
        .value_kind:     by_value
      - .offset:         72
        .size:           4
        .value_kind:     by_value
      - .offset:         80
        .size:           4
        .value_kind:     hidden_block_count_x
      - .offset:         84
        .size:           4
        .value_kind:     hidden_block_count_y
      - .offset:         88
        .size:           4
        .value_kind:     hidden_block_count_z
      - .offset:         92
        .size:           2
        .value_kind:     hidden_group_size_x
      - .offset:         94
        .size:           2
        .value_kind:     hidden_group_size_y
      - .offset:         96
        .size:           2
        .value_kind:     hidden_group_size_z
      - .offset:         98
        .size:           2
        .value_kind:     hidden_remainder_x
      - .offset:         100
        .size:           2
        .value_kind:     hidden_remainder_y
      - .offset:         102
        .size:           2
        .value_kind:     hidden_remainder_z
      - .offset:         120
        .size:           8
        .value_kind:     hidden_global_offset_x
      - .offset:         128
        .size:           8
        .value_kind:     hidden_global_offset_y
      - .offset:         136
        .size:           8
        .value_kind:     hidden_global_offset_z
      - .offset:         144
        .size:           2
        .value_kind:     hidden_grid_dims
    .group_segment_fixed_size: 0
    .kernarg_segment_align: 8
    .kernarg_segment_size: 336
    .language:       OpenCL C
    .language_version:
      - 2
      - 0
    .max_flat_workgroup_size: 256
    .name:           _ZL30rocblas_geam_1D_2matrix_deviceILi256E19rocblas_complex_numIdEPKPKS1_PKPS1_EvmT0_T1_llT2_lli
    .private_segment_fixed_size: 0
    .sgpr_count:     22
    .sgpr_spill_count: 0
    .symbol:         _ZL30rocblas_geam_1D_2matrix_deviceILi256E19rocblas_complex_numIdEPKPKS1_PKPS1_EvmT0_T1_llT2_lli.kd
    .uniform_work_group_size: 1
    .uses_dynamic_stack: false
    .vgpr_count:     10
    .vgpr_spill_count: 0
    .wavefront_size: 64
  - .agpr_count:     0
    .args:
      - .offset:         0
        .size:           4
        .value_kind:     by_value
      - .offset:         4
        .size:           4
        .value_kind:     by_value
      - .offset:         8
        .size:           4
        .value_kind:     by_value
      - .offset:         16
        .size:           16
        .value_kind:     by_value
      - .address_space:  global
        .offset:         32
        .size:           8
        .value_kind:     global_buffer
      - .offset:         40
        .size:           8
        .value_kind:     by_value
      - .offset:         48
        .size:           8
        .value_kind:     by_value
      - .offset:         56
        .size:           8
        .value_kind:     by_value
      - .address_space:  global
        .offset:         64
        .size:           8
        .value_kind:     global_buffer
      - .offset:         72
        .size:           8
        .value_kind:     by_value
      - .offset:         80
        .size:           8
        .value_kind:     by_value
      - .offset:         88
        .size:           8
        .value_kind:     by_value
      - .offset:         96
        .size:           4
        .value_kind:     by_value
    .group_segment_fixed_size: 0
    .kernarg_segment_align: 8
    .kernarg_segment_size: 100
    .language:       OpenCL C
    .language_version:
      - 2
      - 0
    .max_flat_workgroup_size: 256
    .name:           _ZL27rocblas_geam_2matrix_deviceILi16ELi16E19rocblas_complex_numIdEPKPKS1_PKPS1_Ev18rocblas_operation_iiT1_T2_lllT3_llli
    .private_segment_fixed_size: 0
    .sgpr_count:     28
    .sgpr_spill_count: 0
    .symbol:         _ZL27rocblas_geam_2matrix_deviceILi16ELi16E19rocblas_complex_numIdEPKPKS1_PKPS1_Ev18rocblas_operation_iiT1_T2_lllT3_llli.kd
    .uniform_work_group_size: 1
    .uses_dynamic_stack: false
    .vgpr_count:     12
    .vgpr_spill_count: 0
    .wavefront_size: 64
  - .agpr_count:     0
    .args:
      - .offset:         0
        .size:           8
        .value_kind:     by_value
      - .offset:         8
        .size:           16
        .value_kind:     by_value
      - .address_space:  global
        .offset:         24
        .size:           8
        .value_kind:     global_buffer
      - .offset:         32
        .size:           8
        .value_kind:     by_value
      - .offset:         40
        .size:           8
        .value_kind:     by_value
      - .offset:         48
        .size:           16
        .value_kind:     by_value
      - .address_space:  global
        .offset:         64
        .size:           8
        .value_kind:     global_buffer
      - .offset:         72
        .size:           8
        .value_kind:     by_value
      - .offset:         80
        .size:           8
        .value_kind:     by_value
      - .address_space:  global
        .offset:         88
        .size:           8
        .value_kind:     global_buffer
      - .offset:         96
        .size:           8
        .value_kind:     by_value
      - .offset:         104
        .size:           8
        .value_kind:     by_value
      - .offset:         112
        .size:           4
        .value_kind:     by_value
      - .offset:         120
        .size:           4
        .value_kind:     hidden_block_count_x
      - .offset:         124
        .size:           4
        .value_kind:     hidden_block_count_y
      - .offset:         128
        .size:           4
        .value_kind:     hidden_block_count_z
      - .offset:         132
        .size:           2
        .value_kind:     hidden_group_size_x
      - .offset:         134
        .size:           2
        .value_kind:     hidden_group_size_y
      - .offset:         136
        .size:           2
        .value_kind:     hidden_group_size_z
      - .offset:         138
        .size:           2
        .value_kind:     hidden_remainder_x
      - .offset:         140
        .size:           2
        .value_kind:     hidden_remainder_y
      - .offset:         142
        .size:           2
        .value_kind:     hidden_remainder_z
      - .offset:         160
        .size:           8
        .value_kind:     hidden_global_offset_x
      - .offset:         168
        .size:           8
        .value_kind:     hidden_global_offset_y
      - .offset:         176
        .size:           8
        .value_kind:     hidden_global_offset_z
      - .offset:         184
        .size:           2
        .value_kind:     hidden_grid_dims
    .group_segment_fixed_size: 0
    .kernarg_segment_align: 8
    .kernarg_segment_size: 376
    .language:       OpenCL C
    .language_version:
      - 2
      - 0
    .max_flat_workgroup_size: 256
    .name:           _ZL22rocblas_geam_1D_deviceILi256E19rocblas_complex_numIdEPKPKS1_PKPS1_EvmT0_T1_llS9_SA_llT2_lli
    .private_segment_fixed_size: 0
    .sgpr_count:     32
    .sgpr_spill_count: 0
    .symbol:         _ZL22rocblas_geam_1D_deviceILi256E19rocblas_complex_numIdEPKPKS1_PKPS1_EvmT0_T1_llS9_SA_llT2_lli.kd
    .uniform_work_group_size: 1
    .uses_dynamic_stack: false
    .vgpr_count:     14
    .vgpr_spill_count: 0
    .wavefront_size: 64
  - .agpr_count:     0
    .args:
      - .offset:         0
        .size:           8
        .value_kind:     by_value
      - .address_space:  global
        .offset:         8
        .size:           8
        .value_kind:     global_buffer
      - .address_space:  global
        .offset:         16
        .size:           8
        .value_kind:     global_buffer
      - .offset:         24
        .size:           8
        .value_kind:     by_value
      - .offset:         32
        .size:           8
        .value_kind:     by_value
      - .address_space:  global
        .offset:         40
        .size:           8
        .value_kind:     global_buffer
      - .address_space:  global
        .offset:         48
        .size:           8
        .value_kind:     global_buffer
      - .offset:         56
        .size:           8
        .value_kind:     by_value
      - .offset:         64
        .size:           8
        .value_kind:     by_value
      - .address_space:  global
        .offset:         72
        .size:           8
        .value_kind:     global_buffer
      - .offset:         80
        .size:           8
        .value_kind:     by_value
      - .offset:         88
        .size:           8
        .value_kind:     by_value
      - .offset:         96
        .size:           4
        .value_kind:     by_value
      - .offset:         104
        .size:           4
        .value_kind:     hidden_block_count_x
      - .offset:         108
        .size:           4
        .value_kind:     hidden_block_count_y
      - .offset:         112
        .size:           4
        .value_kind:     hidden_block_count_z
      - .offset:         116
        .size:           2
        .value_kind:     hidden_group_size_x
      - .offset:         118
        .size:           2
        .value_kind:     hidden_group_size_y
      - .offset:         120
        .size:           2
        .value_kind:     hidden_group_size_z
      - .offset:         122
        .size:           2
        .value_kind:     hidden_remainder_x
      - .offset:         124
        .size:           2
        .value_kind:     hidden_remainder_y
      - .offset:         126
        .size:           2
        .value_kind:     hidden_remainder_z
      - .offset:         144
        .size:           8
        .value_kind:     hidden_global_offset_x
      - .offset:         152
        .size:           8
        .value_kind:     hidden_global_offset_y
      - .offset:         160
        .size:           8
        .value_kind:     hidden_global_offset_z
      - .offset:         168
        .size:           2
        .value_kind:     hidden_grid_dims
    .group_segment_fixed_size: 0
    .kernarg_segment_align: 8
    .kernarg_segment_size: 360
    .language:       OpenCL C
    .language_version:
      - 2
      - 0
    .max_flat_workgroup_size: 256
    .name:           _ZL22rocblas_geam_1D_deviceILi256EPK19rocblas_complex_numIdEPKS3_PKPS1_EvmT0_T1_llS9_SA_llT2_lli
    .private_segment_fixed_size: 0
    .sgpr_count:     34
    .sgpr_spill_count: 0
    .symbol:         _ZL22rocblas_geam_1D_deviceILi256EPK19rocblas_complex_numIdEPKS3_PKPS1_EvmT0_T1_llS9_SA_llT2_lli.kd
    .uniform_work_group_size: 1
    .uses_dynamic_stack: false
    .vgpr_count:     14
    .vgpr_spill_count: 0
    .wavefront_size: 64
  - .agpr_count:     0
    .args:
      - .offset:         0
        .size:           4
        .value_kind:     by_value
      - .offset:         4
        .size:           4
        .value_kind:     by_value
      - .offset:         8
        .size:           4
        .value_kind:     by_value
      - .offset:         12
        .size:           4
        .value_kind:     by_value
      - .offset:         16
        .size:           16
        .value_kind:     by_value
      - .address_space:  global
        .offset:         32
        .size:           8
        .value_kind:     global_buffer
      - .offset:         40
        .size:           8
        .value_kind:     by_value
      - .offset:         48
        .size:           8
        .value_kind:     by_value
      - .offset:         56
        .size:           8
        .value_kind:     by_value
      - .offset:         64
        .size:           16
        .value_kind:     by_value
      - .address_space:  global
        .offset:         80
        .size:           8
        .value_kind:     global_buffer
      - .offset:         88
        .size:           8
        .value_kind:     by_value
      - .offset:         96
        .size:           8
        .value_kind:     by_value
      - .offset:         104
        .size:           8
        .value_kind:     by_value
      - .address_space:  global
        .offset:         112
        .size:           8
        .value_kind:     global_buffer
      - .offset:         120
        .size:           8
        .value_kind:     by_value
      - .offset:         128
        .size:           8
        .value_kind:     by_value
      - .offset:         136
        .size:           8
        .value_kind:     by_value
      - .offset:         144
        .size:           4
        .value_kind:     by_value
    .group_segment_fixed_size: 0
    .kernarg_segment_align: 8
    .kernarg_segment_size: 148
    .language:       OpenCL C
    .language_version:
      - 2
      - 0
    .max_flat_workgroup_size: 256
    .name:           _ZL19rocblas_geam_deviceILi16ELi16E19rocblas_complex_numIdEPKPKS1_PKPS1_Ev18rocblas_operation_S9_iiT1_T2_lllSA_SB_lllT3_llli
    .private_segment_fixed_size: 0
    .sgpr_count:     40
    .sgpr_spill_count: 0
    .symbol:         _ZL19rocblas_geam_deviceILi16ELi16E19rocblas_complex_numIdEPKPKS1_PKPS1_Ev18rocblas_operation_S9_iiT1_T2_lllSA_SB_lllT3_llli.kd
    .uniform_work_group_size: 1
    .uses_dynamic_stack: false
    .vgpr_count:     14
    .vgpr_spill_count: 0
    .wavefront_size: 64
  - .agpr_count:     0
    .args:
      - .offset:         0
        .size:           4
        .value_kind:     by_value
      - .offset:         4
        .size:           4
        .value_kind:     by_value
      - .offset:         8
        .size:           4
        .value_kind:     by_value
      - .offset:         12
        .size:           4
        .value_kind:     by_value
      - .address_space:  global
        .offset:         16
        .size:           8
        .value_kind:     global_buffer
      - .address_space:  global
        .offset:         24
        .size:           8
        .value_kind:     global_buffer
      - .offset:         32
        .size:           8
        .value_kind:     by_value
      - .offset:         40
        .size:           8
        .value_kind:     by_value
      - .offset:         48
        .size:           8
        .value_kind:     by_value
      - .address_space:  global
        .offset:         56
        .size:           8
        .value_kind:     global_buffer
      - .address_space:  global
        .offset:         64
        .size:           8
        .value_kind:     global_buffer
      - .offset:         72
        .size:           8
        .value_kind:     by_value
      - .offset:         80
        .size:           8
        .value_kind:     by_value
      - .offset:         88
        .size:           8
        .value_kind:     by_value
      - .address_space:  global
        .offset:         96
        .size:           8
        .value_kind:     global_buffer
      - .offset:         104
        .size:           8
        .value_kind:     by_value
      - .offset:         112
        .size:           8
        .value_kind:     by_value
      - .offset:         120
        .size:           8
        .value_kind:     by_value
      - .offset:         128
        .size:           4
        .value_kind:     by_value
    .group_segment_fixed_size: 0
    .kernarg_segment_align: 8
    .kernarg_segment_size: 132
    .language:       OpenCL C
    .language_version:
      - 2
      - 0
    .max_flat_workgroup_size: 256
    .name:           _ZL19rocblas_geam_deviceILi16ELi16EPK19rocblas_complex_numIdEPKS3_PKPS1_Ev18rocblas_operation_S9_iiT1_T2_lllSA_SB_lllT3_llli
    .private_segment_fixed_size: 0
    .sgpr_count:     44
    .sgpr_spill_count: 0
    .symbol:         _ZL19rocblas_geam_deviceILi16ELi16EPK19rocblas_complex_numIdEPKS3_PKPS1_Ev18rocblas_operation_S9_iiT1_T2_lllSA_SB_lllT3_llli.kd
    .uniform_work_group_size: 1
    .uses_dynamic_stack: false
    .vgpr_count:     14
    .vgpr_spill_count: 0
    .wavefront_size: 64
amdhsa.target:   amdgcn-amd-amdhsa--gfx90a
amdhsa.version:
  - 1
  - 2
...

	.end_amdgpu_metadata
